;; amdgpu-corpus repo=ROCm/Tensile kind=harvested arch=n/a opt=n/a

/******************************************/
/* Function Prefix                        */
/******************************************/



/******************************************/
/* Begin Kernel                           */
/******************************************/

// Component.Signature.SignatureDefault
.amdgcn_target "amdgcn-amd-amdhsa--gfx90a"
.text
.protected Cijk_Alik_Bjlk_SB_MT128x128x16_SE_AF0EM1_AMAS3_ASEM1_BL1_DTLA0_DTLB0_EPS1_FL1_GLVWA4_GLVWB4_GRVW4_GSU4_ISA90a_K1_KLA_LPA0_LPB0_LRVW4_MMFGLC_NLCA1_NLCB1_PGR1_PLR1_SUS256_TT8_8_USFGRO0_VAW1_VS1_VW4_VWB4_WS64_WG16_16_1_WGM1
.globl Cijk_Alik_Bjlk_SB_MT128x128x16_SE_AF0EM1_AMAS3_ASEM1_BL1_DTLA0_DTLB0_EPS1_FL1_GLVWA4_GLVWB4_GRVW4_GSU4_ISA90a_K1_KLA_LPA0_LPB0_LRVW4_MMFGLC_NLCA1_NLCB1_PGR1_PLR1_SUS256_TT8_8_USFGRO0_VAW1_VS1_VW4_VWB4_WS64_WG16_16_1_WGM1
.p2align 8
.type Cijk_Alik_Bjlk_SB_MT128x128x16_SE_AF0EM1_AMAS3_ASEM1_BL1_DTLA0_DTLB0_EPS1_FL1_GLVWA4_GLVWB4_GRVW4_GSU4_ISA90a_K1_KLA_LPA0_LPB0_LRVW4_MMFGLC_NLCA1_NLCB1_PGR1_PLR1_SUS256_TT8_8_USFGRO0_VAW1_VS1_VW4_VWB4_WS64_WG16_16_1_WGM1,@function
.section .rodata,#alloc
.p2align 6
.amdhsa_kernel Cijk_Alik_Bjlk_SB_MT128x128x16_SE_AF0EM1_AMAS3_ASEM1_BL1_DTLA0_DTLB0_EPS1_FL1_GLVWA4_GLVWB4_GRVW4_GSU4_ISA90a_K1_KLA_LPA0_LPB0_LRVW4_MMFGLC_NLCA1_NLCB1_PGR1_PLR1_SUS256_TT8_8_USFGRO0_VAW1_VS1_VW4_VWB4_WS64_WG16_16_1_WGM1
  .amdhsa_user_sgpr_kernarg_segment_ptr 1
  .amdhsa_user_sgpr_kernarg_preload_offset 0
  .amdhsa_user_sgpr_kernarg_preload_length 0
  .amdhsa_user_sgpr_count 2
  .amdhsa_accum_offset 136 // accvgpr offset
  .amdhsa_next_free_vgpr 136 // vgprs
  .amdhsa_next_free_sgpr 102 // sgprs
  .amdhsa_group_segment_fixed_size 32768 // lds bytes
  .amdhsa_private_segment_fixed_size 0
  .amdhsa_system_sgpr_workgroup_id_x 1
  .amdhsa_system_sgpr_workgroup_id_y 1
  .amdhsa_system_sgpr_workgroup_id_z 1
  .amdhsa_system_vgpr_workitem_id 0
  .amdhsa_float_denorm_mode_32 3
  .amdhsa_float_denorm_mode_16_64 3
.end_amdhsa_kernel
.text

/******************************************/
/* Optimizations and Config:              */
/******************************************/
/* ThreadTile= 8 x 8 */
/* SubGroup= 16 x 16 */
/* VectorWidth=4 */
/* GlobalLoadVectorWidthA=4, GlobalLoadVectorWidthB=4 */
/* DirectToLdsA=False */
/* DirectToLdsB=False */
/* UseSgprForGRO=False */
.amdgpu_metadata
---
amdhsa.version:
  - 1
  - 2
amdhsa.target: amdgcn-amd-amdhsa--gfx90a
amdhsa.kernels:
  - .name: Cijk_Alik_Bjlk_SB_MT128x128x16_SE_AF0EM1_AMAS3_ASEM1_BL1_DTLA0_DTLB0_EPS1_FL1_GLVWA4_GLVWB4_GRVW4_GSU4_ISA90a_K1_KLA_LPA0_LPB0_LRVW4_MMFGLC_NLCA1_NLCB1_PGR1_PLR1_SUS256_TT8_8_USFGRO0_VAW1_VS1_VW4_VWB4_WS64_WG16_16_1_WGM1
    .symbol: 'Cijk_Alik_Bjlk_SB_MT128x128x16_SE_AF0EM1_AMAS3_ASEM1_BL1_DTLA0_DTLB0_EPS1_FL1_GLVWA4_GLVWB4_GRVW4_GSU4_ISA90a_K1_KLA_LPA0_LPB0_LRVW4_MMFGLC_NLCA1_NLCB1_PGR1_PLR1_SUS256_TT8_8_USFGRO0_VAW1_VS1_VW4_VWB4_WS64_WG16_16_1_WGM1.kd'
    .language:                   OpenCL C
    .language_version:
      - 2
      - 0
    .args:
      - .name:            Tensor2dSizeA
        .size:            8
        .offset:          0
        .value_kind:      by_value
        .value_type:      u64
      - .name:            Tensor2dSizeB
        .size:            8
        .offset:          8
        .value_kind:      by_value
        .value_type:      u64
      - .name:            AddressD
        .size:            8
        .offset:          16
        .value_kind:      by_value
        .value_type:      u64
      - .name:            AddressC
        .size:            8
        .offset:          24
        .value_kind:      by_value
        .value_type:      u64
      - .name:            AddressA
        .size:            8
        .offset:          32
        .value_kind:      by_value
        .value_type:      u64
      - .name:            AddressB
        .size:            8
        .offset:          40
        .value_kind:      by_value
        .value_type:      u64
      - .name:            Alpha
        .size:            4
        .offset:          48
        .value_kind:      by_value
        .value_type:      u32
      - .name:            Beta
        .size:            4
        .offset:          52
        .value_kind:      by_value
        .value_type:      u32
      - .name:            StridesD
        .size:            8
        .offset:          56
        .value_kind:      by_value
        .value_type:      u64
      - .name:            StridesC
        .size:            8
        .offset:          64
        .value_kind:      by_value
        .value_type:      u64
      - .name:            StridesA
        .size:            8
        .offset:          72
        .value_kind:      by_value
        .value_type:      u64
      - .name:            StridesB
        .size:            8
        .offset:          80
        .value_kind:      by_value
        .value_type:      u64
      - .name:            SizesFree
        .size:            12
        .offset:          88
        .value_kind:      by_value
        .value_type:      u96
      - .name:            SizesSum
        .size:            4
        .offset:          100
        .value_kind:      by_value
        .value_type:      u32
      - .name:            OrigStaggerUIter
        .size:            4
        .offset:          104
        .value_kind:      by_value
        .value_type:      u32
      - .name:            NumWorkGroups0
        .size:            4
        .offset:          108
        .value_kind:      by_value
        .value_type:      u32
      - .name:            NumWorkGroups1
        .size:            4
        .offset:          112
        .value_kind:      by_value
        .value_type:      u32
    .group_segment_fixed_size:   32768
    .kernarg_segment_align:      8
    .kernarg_segment_size:       120
    .max_flat_workgroup_size:    256
    .private_segment_fixed_size: 0
    .sgpr_count:                 102
    .sgpr_spill_count:           0
    .vgpr_count:                 136
    .vgpr_spill_count:           0
    .wavefront_size:             64
...
.end_amdgpu_metadata
Cijk_Alik_Bjlk_SB_MT128x128x16_SE_AF0EM1_AMAS3_ASEM1_BL1_DTLA0_DTLB0_EPS1_FL1_GLVWA4_GLVWB4_GRVW4_GSU4_ISA90a_K1_KLA_LPA0_LPB0_LRVW4_MMFGLC_NLCA1_NLCB1_PGR1_PLR1_SUS256_TT8_8_USFGRO0_VAW1_VS1_VW4_VWB4_WS64_WG16_16_1_WGM1:

/******************************************/
/* Asm syntax workarounds                 */
/******************************************/
.macro _v_add_co_u32 dst:req, cc:req, src0:req, src1:req, dpp=
   v_add_co_u32 \dst, \cc, \src0, \src1 \dpp
.endm

.macro _v_add_u32 dst:req, src0:req, src1:req, dpp=
   v_add_u32 \dst, \src0, \src1 \dpp
.endm

.macro _v_add_i32 dst:req, src0:req, src1:req, dpp=
   v_add_i32 \dst, \src0, \src1 \dpp
.endm

.macro _v_addc_co_u32 dst:req, ccOut:req, src0:req, ccIn:req, src1:req, dpp=
   v_addc_co_u32 \dst, \ccOut, \src0, \ccIn, \src1 \dpp
.endm

.macro _v_sub_co_u32 dst:req, cc:req, src0:req, src1:req, dpp=
   v_sub_co_u32 \dst, \cc, \src0, \src1 \dpp
.endm

.macro _v_sub_u32 dst:req, src0:req, src1:req, dpp=
   v_sub_u32 \dst, \src0, \src1 \dpp
.endm

.macro _v_sub_i32 dst:req, src0:req, src1:req, dpp=
   v_sub_i32 \dst, \src0, \src1 \dpp
.endm

.macro _v_add_lshl_u32 dst:req, src0:req, src1:req, shiftCnt:req
    v_add_lshl_u32 \dst, \src0, \src1, \shiftCnt
.endm

.macro _v_lshl_add_u32 dst:req, src0:req, src1:req, shiftCnt:req
    v_lshl_add_u32 \dst, \src0, \src1, \shiftCnt
.endm

.macro _v_lshl_or_b32 dst:req, src0:req, shiftCnt:req, src1:req
    v_lshl_or_b32 \dst, \src0, \shiftCnt, \src1
.endm

.macro _v_dot2acc_f32_f16 dst, src0, src1
v_dot2c_f32_f16 \dst, \src0, \src1
.endm

.macro _v_cmpx_lt_i16 dst, src0, src1=
   v_cmpx_lt_i16 \dst, \src0, \src1 
.endm

.macro _v_cmpx_lt_i32 dst, src0, src1=
   v_cmpx_lt_i32 \dst, \src0, \src1 
.endm

.macro _v_cmpx_lt_i64 dst, src0, src1=
   v_cmpx_lt_i64 \dst, \src0, \src1 
.endm

.macro _v_cmpx_lt_u16 dst, src0, src1=
   v_cmpx_lt_u16 \dst, \src0, \src1 
.endm

.macro _v_cmpx_lt_u32 dst, src0, src1=
   v_cmpx_lt_u32 \dst, \src0, \src1 
.endm

.macro _v_cmpx_lt_u64 dst, src0, src1=
   v_cmpx_lt_u64 \dst, \src0, \src1 
.endm

.macro _v_cmpx_eq_i16 dst, src0, src1=
   v_cmpx_eq_i16 \dst, \src0, \src1 
.endm

.macro _v_cmpx_eq_i32 dst, src0, src1=
   v_cmpx_eq_i32 \dst, \src0, \src1 
.endm

.macro _v_cmpx_eq_i64 dst, src0, src1=
   v_cmpx_eq_i64 \dst, \src0, \src1 
.endm

.macro _v_cmpx_eq_u16 dst, src0, src1=
   v_cmpx_eq_u16 \dst, \src0, \src1 
.endm

.macro _v_cmpx_eq_u32 dst, src0, src1=
   v_cmpx_eq_u32 \dst, \src0, \src1 
.endm

.macro _v_cmpx_eq_u64 dst, src0, src1=
   v_cmpx_eq_u64 \dst, \src0, \src1 
.endm

.macro _v_cmpx_le_i16 dst, src0, src1=
   v_cmpx_le_i16 \dst, \src0, \src1 
.endm

.macro _v_cmpx_le_i32 dst, src0, src1=
   v_cmpx_le_i32 \dst, \src0, \src1 
.endm

.macro _v_cmpx_le_i64 dst, src0, src1=
   v_cmpx_le_i64 \dst, \src0, \src1 
.endm

.macro _v_cmpx_le_u16 dst, src0, src1=
   v_cmpx_le_u16 \dst, \src0, \src1 
.endm

.macro _v_cmpx_le_u32 dst, src0, src1=
   v_cmpx_le_u32 \dst, \src0, \src1 
.endm

.macro _v_cmpx_le_u64 dst, src0, src1=
   v_cmpx_le_u64 \dst, \src0, \src1 
.endm

.macro _v_cmpx_gt_i16 dst, src0, src1=
   v_cmpx_gt_i16 \dst, \src0, \src1 
.endm

.macro _v_cmpx_gt_i32 dst, src0, src1=
   v_cmpx_gt_i32 \dst, \src0, \src1 
.endm

.macro _v_cmpx_gt_i64 dst, src0, src1=
   v_cmpx_gt_i64 \dst, \src0, \src1 
.endm

.macro _v_cmpx_gt_u16 dst, src0, src1=
   v_cmpx_gt_u16 \dst, \src0, \src1 
.endm

.macro _v_cmpx_gt_u32 dst, src0, src1=
   v_cmpx_gt_u32 \dst, \src0, \src1 
.endm

.macro _v_cmpx_gt_u64 dst, src0, src1=
   v_cmpx_gt_u64 \dst, \src0, \src1 
.endm

.macro _v_cmpx_ne_i16 dst, src0, src1=
   v_cmpx_ne_i16 \dst, \src0, \src1 
.endm

.macro _v_cmpx_ne_i32 dst, src0, src1=
   v_cmpx_ne_i32 \dst, \src0, \src1 
.endm

.macro _v_cmpx_ne_i64 dst, src0, src1=
   v_cmpx_ne_i64 \dst, \src0, \src1 
.endm

.macro _v_cmpx_ne_u16 dst, src0, src1=
   v_cmpx_ne_u16 \dst, \src0, \src1 
.endm

.macro _v_cmpx_ne_u32 dst, src0, src1=
   v_cmpx_ne_u32 \dst, \src0, \src1 
.endm

.macro _v_cmpx_ne_u64 dst, src0, src1=
   v_cmpx_ne_u64 \dst, \src0, \src1 
.endm

.macro _v_cmpx_lg_i16 dst, src0, src1=
   v_cmpx_lg_i16 \dst, \src0, \src1 
.endm

.macro _v_cmpx_lg_i32 dst, src0, src1=
   v_cmpx_lg_i32 \dst, \src0, \src1 
.endm

.macro _v_cmpx_lg_i64 dst, src0, src1=
   v_cmpx_lg_i64 \dst, \src0, \src1 
.endm

.macro _v_cmpx_lg_u16 dst, src0, src1=
   v_cmpx_lg_u16 \dst, \src0, \src1 
.endm

.macro _v_cmpx_lg_u32 dst, src0, src1=
   v_cmpx_lg_u32 \dst, \src0, \src1 
.endm

.macro _v_cmpx_lg_u64 dst, src0, src1=
   v_cmpx_lg_u64 \dst, \src0, \src1 
.endm

.macro _v_cmpx_ge_i16 dst, src0, src1=
   v_cmpx_ge_i16 \dst, \src0, \src1 
.endm

.macro _v_cmpx_ge_i32 dst, src0, src1=
   v_cmpx_ge_i32 \dst, \src0, \src1 
.endm

.macro _v_cmpx_ge_i64 dst, src0, src1=
   v_cmpx_ge_i64 \dst, \src0, \src1 
.endm

.macro _v_cmpx_ge_u16 dst, src0, src1=
   v_cmpx_ge_u16 \dst, \src0, \src1 
.endm

.macro _v_cmpx_ge_u32 dst, src0, src1=
   v_cmpx_ge_u32 \dst, \src0, \src1 
.endm

.macro _v_cmpx_ge_u64 dst, src0, src1=
   v_cmpx_ge_u64 \dst, \src0, \src1 
.endm

.macro _v_cmpx_o_i16 dst, src0, src1=
   v_cmpx_o_i16 \dst, \src0, \src1 
.endm

.macro _v_cmpx_o_i32 dst, src0, src1=
   v_cmpx_o_i32 \dst, \src0, \src1 
.endm

.macro _v_cmpx_o_i64 dst, src0, src1=
   v_cmpx_o_i64 \dst, \src0, \src1 
.endm

.macro _v_cmpx_o_u16 dst, src0, src1=
   v_cmpx_o_u16 \dst, \src0, \src1 
.endm

.macro _v_cmpx_o_u32 dst, src0, src1=
   v_cmpx_o_u32 \dst, \src0, \src1 
.endm

.macro _v_cmpx_o_u64 dst, src0, src1=
   v_cmpx_o_u64 \dst, \src0, \src1 
.endm

.macro _v_cmpx_u_i16 dst, src0, src1=
   v_cmpx_u_i16 \dst, \src0, \src1 
.endm

.macro _v_cmpx_u_i32 dst, src0, src1=
   v_cmpx_u_i32 \dst, \src0, \src1 
.endm

.macro _v_cmpx_u_i64 dst, src0, src1=
   v_cmpx_u_i64 \dst, \src0, \src1 
.endm

.macro _v_cmpx_u_u16 dst, src0, src1=
   v_cmpx_u_u16 \dst, \src0, \src1 
.endm

.macro _v_cmpx_u_u32 dst, src0, src1=
   v_cmpx_u_u32 \dst, \src0, \src1 
.endm

.macro _v_cmpx_u_u64 dst, src0, src1=
   v_cmpx_u_u64 \dst, \src0, \src1 
.endm
.macro _v_mac_f32 c:req, a:req, b:req
    v_fmac_f32 \c, \a, \b
.endmacro

/* scale global load macros */
.macro _s_load_b32 dst base offset
    s_load_dword \dst \base \offset
.endm

.macro _s_load_b64 dst base offset
    s_load_dwordx2 \dst \base \offset
.endm

.macro _s_load_b128 dst base offset
    s_load_dwordx4 \dst \base \offset
.endm

.macro _s_load_b256 dst base offset
    s_load_dwordx8 \dst \base \offset
.endm

.macro _s_load_b512 dst base offset
    s_load_dwordx16 \dst \base \offset
.endm


/* ds operation macros */
.macro _ds_load_u8 dst src offset
    ds_read_u8 \dst \src \offset
.endm

.macro _ds_load_u8_d16_hi dst src offset
    ds_read_u8_d16_hi \dst \src \offset
.endm

.macro _ds_load_u16 dst src offset
    ds_read_u16 \dst \src \offset
.endm

.macro _ds_load_u16_d16_hi dst src offset
    ds_read_u16_d16_hi \dst \src \offset
.endm

.macro _ds_load_b32 dst src offset
    ds_read_b32 \dst \src \offset
.endm

.macro _ds_load_b64 dst src offset
    ds_read_b64 \dst \src \offset
.endm

.macro _ds_load_b128 dst src offset
    ds_read_b128 \dst \src \offset
.endm

.macro _ds_store_b8 dst src offset
    ds_write_b8 \dst \src \offset
.endm

.macro _ds_store_b8_d16_hi dst src offset
    ds_write_b8_d16_hi \dst \src \offset
.endm

.macro _ds_store_b16 dst src offset
    ds_write_b16 \dst \src \offset
.endm

.macro _ds_store_b16_d16_hi dst src offset
    ds_write_b16_d16_hi \dst \src \offset
.endm

.macro _ds_store_b32 dst src offset
    ds_write_b32 \dst \src \offset
.endm

.macro _ds_store_b64 dst src offset
    ds_write_b64 \dst \src \offset
.endm

.macro _ds_store_b128 dst src offset
    ds_write_b128 \dst \src \offset
.endm

.macro _ds_load2_b32 dst src offset1 offset2
    ds_read2_b32 \dst \src \offset1 \offset2
.endm

.macro _ds_load2_b64 dst src offset1 offset2
    ds_read2_b64 \dst \src \offset1 \offset2
.endm

.macro _ds_store2_b32 dst src offset1 offset2
    ds_write2_b32 \dst \src \offset1 \offset2
.endm

.macro _ds_store2_b64 dst src offset1 offset2
    ds_write2_b64 \dst \src \offset1 \offset2
.endm


/* buffer memory operation macros */
.macro _buffer_load_b32 dst voffset base soffset offen ioffset md0 md1 md2
    buffer_load_dword \dst \voffset \base \soffset \offen \ioffset \md0 \md1 \md2
.endm

.macro _buffer_load_b64 dst voffset base soffset offen ioffset md0 md1 md2
    buffer_load_dwordx2 \dst \voffset \base \soffset \offen \ioffset \md0 \md1 \md2
.endm

.macro _buffer_load_b96 dst voffset base soffset offen ioffset md0 md1 md2
    buffer_load_dwordx3 \dst \voffset \base \soffset \offen \ioffset \md0 \md1 \md2
.endm

.macro _buffer_load_b128 dst voffset base soffset offen ioffset md0 md1 md2
    buffer_load_dwordx4 \dst \voffset \base \soffset \offen \ioffset \md0 \md1 \md2
.endm

.macro _buffer_load_d16_b16 dst voffset base soffset offen ioffset md0 md1 md2
    buffer_load_short_d16 \dst \voffset \base \soffset \offen \ioffset \md0 \md1 \md2
.endm

.macro _buffer_load_d16_hi_b16 dst voffset base soffset offen ioffset md0 md1 md2
    buffer_load_short_d16_hi \dst \voffset \base \soffset \offen \ioffset \md0 \md1 \md2
.endm

.macro _buffer_load_d16_u8 dst voffset base soffset offen ioffset md0 md1 md2
    buffer_load_ubyte_d16 \dst \voffset \base \soffset \offen \ioffset \md0 \md1 \md2
.endm

.macro _buffer_load_d16_hi_u8 dst voffset base soffset offen ioffset md0 md1 md2
    buffer_load_ubyte_d16_hi \dst \voffset \base \soffset \offen \ioffset \md0 \md1 \md2
.endm

.macro _buffer_load_u16 dst voffset base soffset offen ioffset md0 md1 md2
    buffer_load_ushort \dst \voffset \base \soffset \offen \ioffset \md0 \md1 \md2
.endm

.macro _buffer_load_b32_dtl voffset base soffset offen ioffset md0 md1 md2
    buffer_load_dword \voffset \base \soffset \offen \ioffset \md0 \md1 \md2
.endm

.macro _buffer_load_b64_dtl voffset base soffset offen ioffset md0 md1 md2
    buffer_load_dwordx2 \voffset \base \soffset \offen \ioffset \md0 \md1 \md2
.endm

.macro _buffer_load_b128_dtl voffset base soffset offen ioffset md0 md1 md2
    buffer_load_dwordx4 \voffset \base \soffset \offen \ioffset \md0 \md1 \md2
.endm

.macro _buffer_load_u16_dtl voffset base soffset offen ioffset md0 md1 md2
    buffer_load_ushort \voffset \base \soffset \offen \ioffset \md0 \md1 \md2
.endm

.macro _buffer_store_b32 src voffset base soffset offen ioffset md0 md1 md2
    buffer_store_dword \src \voffset \base \soffset \offen \ioffset \md0 \md1 \md2
.endm

.macro _buffer_store_b64 src voffset base soffset offen ioffset md0 md1 md2
    buffer_store_dwordx2 \src \voffset \base \soffset \offen \ioffset \md0 \md1 \md2
.endm

.macro _buffer_store_b96 src voffset base soffset offen ioffset md0 md1 md2
    buffer_store_dwordx3 \src \voffset \base \soffset \offen \ioffset \md0 \md1 \md2
.endm

.macro _buffer_store_b128 src voffset base soffset offen ioffset md0 md1 md2
    buffer_store_dwordx4 \src \voffset \base \soffset \offen \ioffset \md0 \md1 \md2
.endm

.macro _buffer_store_b16 src voffset base soffset offen ioffset md0 md1 md2
    buffer_store_short \src \voffset \base \soffset \offen \ioffset \md0 \md1 \md2
.endm

.macro _buffer_store_d16_hi_b16 src voffset base soffset offen ioffset md0 md1 md2
    buffer_store_short_d16_hi \src \voffset \base \soffset \offen \ioffset \md0 \md1 \md2
.endm

.macro _buffer_store_b8 src voffset base soffset offen ioffset md0 md1 md2
    buffer_store_byte \src \voffset \base \soffset \offen \ioffset \md0 \md1 \md2
.endm

.macro _buffer_store_d16_hi_b8 src voffset base soffset offen ioffset md0 md1 md2
    buffer_store_byte_d16_hi \src \voffset \base \soffset \offen \ioffset \md0 \md1 \md2
.endm

.macro _buffer_atomic_cmpswap_b32 dst voffset base soffset offen ioffset md0 md1 md2
    buffer_atomic_cmpswap \dst \voffset \base \soffset \offen \ioffset \md0 \md1 \md2
.endm

.macro _buffer_atomic_cmpswap_b64 dst voffset base soffset offen ioffset md0 md1 md2
    buffer_atomic_cmpswap_x2 \dst \voffset \base \soffset \offen \ioffset \md0 \md1 \md2
.endm


/* buffer memory operation macros */
.macro _global_load_b32 dst base src ioffset md0 md1 md2
    global_load_dword \dst \base \src \ioffset \md0 \md1 \md2
.endm

.macro _global_load_b64 dst base src ioffset md0 md1 md2
    global_load_dwordx2 \dst \base \src \ioffset \md0 \md1 \md2
.endm

.macro _global_load_b96 dst base src ioffset md0 md1 md2
    global_load_dwordx3 \dst \base \src \ioffset \md0 \md1 \md2
.endm

.macro _global_load_b128 dst base src ioffset md0 md1 md2
    global_load_dwordx4 \dst \base \src \ioffset \md0 \md1 \md2
.endm

.macro _global_load_d16_b16 dst base src ioffset md0 md1 md2
    global_load_short_d16 \dst \base \src \ioffset \md0 \md1 \md2
.endm

.macro _global_load_d16_hi_b16 dst base src ioffset md0 md1 md2
    global_load_short_d16_hi \dst \base \src \ioffset \md0 \md1 \md2
.endm

.macro _global_load_d16_u8 dst base src ioffset md0 md1 md2
    global_load_ubyte_d16 \dst \base \src \ioffset \md0 \md1 \md2
.endm

.macro _global_load_d16_hi_u8 dst base src ioffset md0 md1 md2
    global_load_ubyte_d16_hi \dst \base \src \ioffset \md0 \md1 \md2
.endm

.macro _global_load_u16 dst base src ioffset md0 md1 md2
    global_load_ushort \dst \base \src \ioffset \md0 \md1 \md2
.endm

.macro _global_store_b32 base src src2 md0 md1 md2
    global_store_dword \base \src \src2 \md0 \md1 \md2
.endm

.macro _global_store_b64 base src src2 md0 md1 md2
    global_store_dwordx2 \base \src \src2 \md0 \md1 \md2
.endm

.macro _global_store_b96 base src src2 md0 md1 md2
    global_store_dwordx3 \base \src \src2 \md0 \md1 \md2
.endm

.macro _global_store_b128 base src src2 md0 md1 md2
    global_store_dwordx4 \base \src \src2 \md0 \md1 \md2
.endm

.macro _global_store_d16_b16 base src src2 md0 md1 md2
    global_store_short \base \src \src2 \md0 \md1 \md2
.endm

.macro _global_store_d16_hi_b16 base src src2 md0 md1 md2
    global_store_short_d16_hi \base \src \src2 \md0 \md1 \md2
.endm

.macro _global_store_d16_u8 base src src2 md0 md1 md2
    global_store_ubyte_d16 \base \src \src2 \md0 \md1 \md2
.endm

.macro _global_store_d16_hi_u8 base src src2 md0 md1 md2
    global_store_ubyte_d16_hi \base \src \src2 \md0 \md1 \md2
.endm

.macro _global_store_u16 base src src2 md0 md1 md2
    global_store_ushort \base \src \src2 \md0 \md1 \md2
.endm

.macro _global_atomic_cmpswap_b32 tmp base data src ioffset md
    global_atomic_cmpswap \tmp \base \data \src \ioffset \md
.endm

.macro _global_atomic_cmpswap_b64 tmp base data src ioffset md
    global_atomic_cmpswap_x2 \tmp \base \data \src \ioffset \md
.endm


/******************************************/
/* Magic div and mod functions            */
/******************************************/
.macro V_MAGIC_DIV dstIdx:req, dividend:req, magicNumber:req, magicShift:req, magicA:req
    v_mul_hi_u32 v[\dstIdx+1], \dividend, \magicNumber
    v_mul_lo_u32 v[\dstIdx+0], \dividend, \magicA
    _v_add_u32 v[\dstIdx+0], v[\dstIdx+0], v[\dstIdx+1]
    v_lshrrev_b32 v[\dstIdx+0], \magicShift, v[\dstIdx+0]
.endm

/******************************************/
/* VGPR Assignments                       */
/******************************************/
/* ValuC range: [0-64),  */
.set vgprValuC, 0
/* ValuA/B   Xn=PLR buffer idx,  In=InnerUnroll idx */
.set vgprValuA_X0_I0, 64
.set vgprValuA_X1_I0, 72
.set vgprG2LA, 102
.set vgprValuB_X0_I0, 80
.set vgprValuB_X1_I0, 88
.set vgprG2LB, 110
.set vgprLocalWriteAddrA, 96
.set vgprLocalWriteAddrB, 97
.set vgprGlobalReadOffsetA, 98
.set vgprGlobalReadOffsetB, 100
.set vgprLocalReadAddrA, 118
.set vgprLocalReadAddrB, 119
.set vgprSerial, 120
/* Num VGPR=136 */
/* Num AccVGPR=0 */

/******************************************/
/* SGPR Assignments                       */
/******************************************/
.set sgprKernArgAddress, 0 // (2)
.set sgprWorkGroup0, 2 // (1)
.set sgprWorkGroup1, 3 // (1)
.set sgprWorkGroup2, 4 // (1)
.set sgprGSUSumIdx, 5 // (2)
.set sgprLoopCounterL, 7 // (1)
.set sgprOrigLoopCounter, 8 // (1)
.set sgprSrdA, 12 // (4)
.set sgprSrdB, 16 // (4)
.set sgprSrdD, 20 // (4)
.set sgprSrdC, 24 // (4)
.set sgprTensor2dSizeA, 28 // (2)
.set sgprTensor2dSizeB, 30 // (2)
.set sgprAddressD, 32 // (2)
.set sgprAddressC, 34 // (2)
.set sgprAddressA, 36 // (2)
.set sgprAddressB, 38 // (2)
.set sgprAlpha, 40 // (1)
.set sgprBeta, 41 // (1)
.set sgprStridesD, 42 // (2)
.set sgprStridesC, 44 // (2)
.set sgprStridesA, 46 // (2)
.set sgprStridesB, 48 // (2)
.set sgprSizesFree, 50 // (3)
.set sgprSizesSum, 53 // (1)
.set sgprOrigStaggerUIter, 54 // (1)
.set sgprNumWorkGroups0, 55 // (1)
.set sgprNumWorkGroups1, 56 // (1)
.set sgprShadowLimitA, 0 // (2)
.set sgprShadowLimitB, 32 // (2)
.set sgprStaggerUIter, 9 // (1)
.set sgprWrapUA, 34 // (2)
.set sgprWrapUB, 36 // (2)
.set sgprGlobalReadIncsA, 38 // (1)
.set sgprGlobalReadIncsB, 39 // (1)
/* max SGPR=102 */

/* Size Assignments */
.set sgprSizeI, sgprSizesFree+0
.set sgprSizeJ, sgprSizesFree+1
.set sgprSizeK, sgprSizesFree+2
.set sgprSizeL, sgprSizesSum+0

/* Stride Assignments */
.set constStrideD0I, 1
.set sgprStrideD1J, sgprStridesD+0
.set sgprStrideDK, sgprStridesD+1
.set constStrideC0I, 1
.set sgprStrideC1J, sgprStridesC+0
.set sgprStrideCK, sgprStridesC+1
.set constStrideAL, 1
.set sgprStrideA0I, sgprStridesA+0
.set sgprStrideAK, sgprStridesA+1
.set constStrideB1J, 1
.set sgprStrideBL, sgprStridesB+0
.set sgprStrideBK, sgprStridesB+1

.set MT0, 128
.set MT1, 128
.set DepthU, 16
.set GSU, 4
.set BpeA, 4
.set BpeALog2, 2
.set BpeB, 4
.set BpeBLog2, 2
/* Number of elements to shift-left SRD */
.set SrdShiftLeftA, 4
.set SrdShiftLeftB, 4
/* 2GB limit - set offsets to -1 to exceed this and clamp */
.set BufferLimitA, 0xffffffff
.set BufferLimitB, 0xffffffff
.set BufferOOB, 0xfffff000

/******************************************/
/* Bits 127:96 of SRD.                    */
/* hex: 0x00020000                        */
/* dst_sel_x (3b): 0                      */
/* dst_sel_y (3b): 0                      */
/* dst_sel_z (3b): 0                      */
/* dst_sel_w (3b): 0                      */
/* num_format (3b): 0                     */
/* data_format (4b): 4                    */
/* user_vm_enable (1b): 0                 */
/* user_vm_mode (1b): 0                   */
/* index_stride (2b): 0                   */
/* add_tid_enable (1b): 0                 */
/* _unusedA (3b): 0                       */
/* nv (1b): 0                             */
/* _unusedB (2b): 0                       */
/* type (2b): 0                           */
/******************************************/
.set Srd127_96, 0x00020000

/* Global Offset A */
.macro GLOBAL_OFFSET_A vgprAddr:req vgprOffsetL:req vgprOffset0I:req vgprTmp:req
v_mul_lo_u32 v[\vgprTmp+0], s[sgprStrideA0I], v[\vgprOffset0I] // mul d1 lower
_v_add_co_u32 v[\vgprAddr+0], vcc, v[\vgprOffsetL], v[\vgprTmp+0] // accumulate K lower
_v_add_u32 v[\vgprAddr+0], 0x4, v[\vgprAddr+0]     // add prepad for pointer shift
v_lshlrev_b32 v[\vgprAddr+0], 0x2, v[\vgprAddr+0]  // offset *= bytes/element
.endm

/* Global Offset B */
.macro GLOBAL_OFFSET_B vgprAddr:req vgprOffset1J:req vgprOffsetL:req vgprTmp:req
v_mul_lo_u32 v[\vgprTmp+0], s[sgprStrideBL], v[\vgprOffsetL] // mul d1 lower
_v_add_co_u32 v[\vgprAddr+0], vcc, v[\vgprOffset1J], v[\vgprTmp+0] // accumulate K lower
_v_add_u32 v[\vgprAddr+0], 0x4, v[\vgprAddr+0]     // add prepad for pointer shift
v_lshlrev_b32 v[\vgprAddr+0], 0x2, v[\vgprAddr+0]  // offset *= bytes/element
.endm

/******************************************/
/* Dynamic Scalar Divide: vQuotient=vDividend/vDivisor; vRemainder=vDividend%vDivisor; */
/******************************************/
.macro DYNAMIC_VECTOR_DIVIDE vQuotient vRemainder vDividend vDivisor vTmp0 vTmp1 sTmp
v_cvt_f32_u32 v[\vQuotient], v[\vDivisor]          // 
v_rcp_f32 v[\vQuotient], v[\vQuotient]             // 
v_mul_f32 v[\vQuotient], 0x4f800000, v[\vQuotient] // 
v_cvt_u32_f32 v[\vQuotient], v[\vQuotient]         // 
v_mul_lo_u32 v[\vRemainder], v[\vDivisor], v[\vQuotient] // 
v_mul_hi_u32 v[\vTmp0], v[\vDivisor], v[\vQuotient] // 
_v_sub_co_u32 v[\vTmp1], vcc, 0x0, v[\vRemainder]  // 
v_cmp_ne_i32 s[\sTmp:\sTmp+1], 0x0, v[\vTmp0]      // 
v_cndmask_b32 v[\vRemainder], v[\vTmp1], v[\vRemainder], s[\sTmp:\sTmp+1] // 
v_mul_hi_u32 v[\vRemainder], v[\vRemainder], v[\vQuotient] // 
_v_sub_co_u32 v[\vTmp0], vcc, v[\vQuotient], v[\vRemainder] // 
_v_add_co_u32 v[\vQuotient], vcc, v[\vQuotient], v[\vRemainder] // 
v_cndmask_b32 v[\vQuotient], v[\vQuotient], v[\vTmp0], s[\sTmp:\sTmp+1] // 
v_mul_hi_u32 v[\vQuotient], v[\vQuotient], v[\vDividend] // 
v_mul_lo_u32 v[\vRemainder], v[\vQuotient], v[\vDivisor] // 
_v_sub_co_u32 v[\vTmp0], vcc, v[\vDividend], v[\vRemainder] // 
v_cmp_ge_u32 s[\sTmp:\sTmp+1], v[\vDividend], v[\vRemainder] // 
_v_add_co_u32 v[\vRemainder], vcc, 0x1, v[\vQuotient] // 
_v_add_co_u32 v[\vTmp1], vcc, -1, v[\vQuotient]    // 
v_cmp_le_u32 vcc, v[\vDivisor], v[\vTmp0]          // 
s_and_b64 vcc, s[\sTmp:\sTmp+1], vcc               // 
v_cndmask_b32 v[\vQuotient], v[\vQuotient], v[\vRemainder], vcc // 
v_cndmask_b32 v[\vQuotient], v[\vTmp1], v[\vQuotient], s[\sTmp:\sTmp+1] // 
v_cmp_ne_i32 vcc, 0x0, v[\vDivisor]                // 
v_cndmask_b32 v[\vQuotient], -1, v[\vQuotient], vcc // final result
v_mul_lo_u32 v[\vRemainder], v[\vQuotient], v[\vDivisor] // 
_v_sub_co_u32 v[\vRemainder], vcc, v[\vDividend], v[\vRemainder] // final result
.endm

/******************************************/
/* 8x8 thread-tile                        */
/******************************************/
.macro MAC_8x8_X0
// Component.MAC.MAC_F32_Plain
v_fmac_f32 v[vgprValuC + 0 + 0*8], v[vgprValuA_X0_I0 + 0], v[vgprValuB_X0_I0 + 0]
s_setprio 1 // Raise priority while processing macs
v_fmac_f32 v[vgprValuC + 1 + 0*8], v[vgprValuA_X0_I0 + 1], v[vgprValuB_X0_I0 + 0]
v_fmac_f32 v[vgprValuC + 2 + 0*8], v[vgprValuA_X0_I0 + 2], v[vgprValuB_X0_I0 + 0]
v_fmac_f32 v[vgprValuC + 3 + 0*8], v[vgprValuA_X0_I0 + 3], v[vgprValuB_X0_I0 + 0]
v_fmac_f32 v[vgprValuC + 4 + 0*8], v[vgprValuA_X0_I0 + 4], v[vgprValuB_X0_I0 + 0]
v_fmac_f32 v[vgprValuC + 5 + 0*8], v[vgprValuA_X0_I0 + 5], v[vgprValuB_X0_I0 + 0]
v_fmac_f32 v[vgprValuC + 6 + 0*8], v[vgprValuA_X0_I0 + 6], v[vgprValuB_X0_I0 + 0]
v_fmac_f32 v[vgprValuC + 7 + 0*8], v[vgprValuA_X0_I0 + 7], v[vgprValuB_X0_I0 + 0]
v_fmac_f32 v[vgprValuC + 0 + 1*8], v[vgprValuA_X0_I0 + 0], v[vgprValuB_X0_I0 + 1]
v_fmac_f32 v[vgprValuC + 1 + 1*8], v[vgprValuA_X0_I0 + 1], v[vgprValuB_X0_I0 + 1]
v_fmac_f32 v[vgprValuC + 2 + 1*8], v[vgprValuA_X0_I0 + 2], v[vgprValuB_X0_I0 + 1]
v_fmac_f32 v[vgprValuC + 3 + 1*8], v[vgprValuA_X0_I0 + 3], v[vgprValuB_X0_I0 + 1]
v_fmac_f32 v[vgprValuC + 4 + 1*8], v[vgprValuA_X0_I0 + 4], v[vgprValuB_X0_I0 + 1]
v_fmac_f32 v[vgprValuC + 5 + 1*8], v[vgprValuA_X0_I0 + 5], v[vgprValuB_X0_I0 + 1]
v_fmac_f32 v[vgprValuC + 6 + 1*8], v[vgprValuA_X0_I0 + 6], v[vgprValuB_X0_I0 + 1]
v_fmac_f32 v[vgprValuC + 7 + 1*8], v[vgprValuA_X0_I0 + 7], v[vgprValuB_X0_I0 + 1]
v_fmac_f32 v[vgprValuC + 0 + 2*8], v[vgprValuA_X0_I0 + 0], v[vgprValuB_X0_I0 + 2]
v_fmac_f32 v[vgprValuC + 1 + 2*8], v[vgprValuA_X0_I0 + 1], v[vgprValuB_X0_I0 + 2]
v_fmac_f32 v[vgprValuC + 2 + 2*8], v[vgprValuA_X0_I0 + 2], v[vgprValuB_X0_I0 + 2]
v_fmac_f32 v[vgprValuC + 3 + 2*8], v[vgprValuA_X0_I0 + 3], v[vgprValuB_X0_I0 + 2]
v_fmac_f32 v[vgprValuC + 4 + 2*8], v[vgprValuA_X0_I0 + 4], v[vgprValuB_X0_I0 + 2]
v_fmac_f32 v[vgprValuC + 5 + 2*8], v[vgprValuA_X0_I0 + 5], v[vgprValuB_X0_I0 + 2]
v_fmac_f32 v[vgprValuC + 6 + 2*8], v[vgprValuA_X0_I0 + 6], v[vgprValuB_X0_I0 + 2]
v_fmac_f32 v[vgprValuC + 7 + 2*8], v[vgprValuA_X0_I0 + 7], v[vgprValuB_X0_I0 + 2]
v_fmac_f32 v[vgprValuC + 0 + 3*8], v[vgprValuA_X0_I0 + 0], v[vgprValuB_X0_I0 + 3]
v_fmac_f32 v[vgprValuC + 1 + 3*8], v[vgprValuA_X0_I0 + 1], v[vgprValuB_X0_I0 + 3]
v_fmac_f32 v[vgprValuC + 2 + 3*8], v[vgprValuA_X0_I0 + 2], v[vgprValuB_X0_I0 + 3]
v_fmac_f32 v[vgprValuC + 3 + 3*8], v[vgprValuA_X0_I0 + 3], v[vgprValuB_X0_I0 + 3]
v_fmac_f32 v[vgprValuC + 4 + 3*8], v[vgprValuA_X0_I0 + 4], v[vgprValuB_X0_I0 + 3]
v_fmac_f32 v[vgprValuC + 5 + 3*8], v[vgprValuA_X0_I0 + 5], v[vgprValuB_X0_I0 + 3]
v_fmac_f32 v[vgprValuC + 6 + 3*8], v[vgprValuA_X0_I0 + 6], v[vgprValuB_X0_I0 + 3]
v_fmac_f32 v[vgprValuC + 7 + 3*8], v[vgprValuA_X0_I0 + 7], v[vgprValuB_X0_I0 + 3]
v_fmac_f32 v[vgprValuC + 0 + 4*8], v[vgprValuA_X0_I0 + 0], v[vgprValuB_X0_I0 + 4]
v_fmac_f32 v[vgprValuC + 1 + 4*8], v[vgprValuA_X0_I0 + 1], v[vgprValuB_X0_I0 + 4]
v_fmac_f32 v[vgprValuC + 2 + 4*8], v[vgprValuA_X0_I0 + 2], v[vgprValuB_X0_I0 + 4]
v_fmac_f32 v[vgprValuC + 3 + 4*8], v[vgprValuA_X0_I0 + 3], v[vgprValuB_X0_I0 + 4]
v_fmac_f32 v[vgprValuC + 4 + 4*8], v[vgprValuA_X0_I0 + 4], v[vgprValuB_X0_I0 + 4]
v_fmac_f32 v[vgprValuC + 5 + 4*8], v[vgprValuA_X0_I0 + 5], v[vgprValuB_X0_I0 + 4]
v_fmac_f32 v[vgprValuC + 6 + 4*8], v[vgprValuA_X0_I0 + 6], v[vgprValuB_X0_I0 + 4]
v_fmac_f32 v[vgprValuC + 7 + 4*8], v[vgprValuA_X0_I0 + 7], v[vgprValuB_X0_I0 + 4]
v_fmac_f32 v[vgprValuC + 0 + 5*8], v[vgprValuA_X0_I0 + 0], v[vgprValuB_X0_I0 + 5]
v_fmac_f32 v[vgprValuC + 1 + 5*8], v[vgprValuA_X0_I0 + 1], v[vgprValuB_X0_I0 + 5]
v_fmac_f32 v[vgprValuC + 2 + 5*8], v[vgprValuA_X0_I0 + 2], v[vgprValuB_X0_I0 + 5]
v_fmac_f32 v[vgprValuC + 3 + 5*8], v[vgprValuA_X0_I0 + 3], v[vgprValuB_X0_I0 + 5]
v_fmac_f32 v[vgprValuC + 4 + 5*8], v[vgprValuA_X0_I0 + 4], v[vgprValuB_X0_I0 + 5]
v_fmac_f32 v[vgprValuC + 5 + 5*8], v[vgprValuA_X0_I0 + 5], v[vgprValuB_X0_I0 + 5]
v_fmac_f32 v[vgprValuC + 6 + 5*8], v[vgprValuA_X0_I0 + 6], v[vgprValuB_X0_I0 + 5]
v_fmac_f32 v[vgprValuC + 7 + 5*8], v[vgprValuA_X0_I0 + 7], v[vgprValuB_X0_I0 + 5]
v_fmac_f32 v[vgprValuC + 0 + 6*8], v[vgprValuA_X0_I0 + 0], v[vgprValuB_X0_I0 + 6]
v_fmac_f32 v[vgprValuC + 1 + 6*8], v[vgprValuA_X0_I0 + 1], v[vgprValuB_X0_I0 + 6]
v_fmac_f32 v[vgprValuC + 2 + 6*8], v[vgprValuA_X0_I0 + 2], v[vgprValuB_X0_I0 + 6]
v_fmac_f32 v[vgprValuC + 3 + 6*8], v[vgprValuA_X0_I0 + 3], v[vgprValuB_X0_I0 + 6]
v_fmac_f32 v[vgprValuC + 4 + 6*8], v[vgprValuA_X0_I0 + 4], v[vgprValuB_X0_I0 + 6]
v_fmac_f32 v[vgprValuC + 5 + 6*8], v[vgprValuA_X0_I0 + 5], v[vgprValuB_X0_I0 + 6]
v_fmac_f32 v[vgprValuC + 6 + 6*8], v[vgprValuA_X0_I0 + 6], v[vgprValuB_X0_I0 + 6]
v_fmac_f32 v[vgprValuC + 7 + 6*8], v[vgprValuA_X0_I0 + 7], v[vgprValuB_X0_I0 + 6]
v_fmac_f32 v[vgprValuC + 0 + 7*8], v[vgprValuA_X0_I0 + 0], v[vgprValuB_X0_I0 + 7]
v_fmac_f32 v[vgprValuC + 1 + 7*8], v[vgprValuA_X0_I0 + 1], v[vgprValuB_X0_I0 + 7]
v_fmac_f32 v[vgprValuC + 2 + 7*8], v[vgprValuA_X0_I0 + 2], v[vgprValuB_X0_I0 + 7]
v_fmac_f32 v[vgprValuC + 3 + 7*8], v[vgprValuA_X0_I0 + 3], v[vgprValuB_X0_I0 + 7]
v_fmac_f32 v[vgprValuC + 4 + 7*8], v[vgprValuA_X0_I0 + 4], v[vgprValuB_X0_I0 + 7]
v_fmac_f32 v[vgprValuC + 5 + 7*8], v[vgprValuA_X0_I0 + 5], v[vgprValuB_X0_I0 + 7]
v_fmac_f32 v[vgprValuC + 6 + 7*8], v[vgprValuA_X0_I0 + 6], v[vgprValuB_X0_I0 + 7]
v_fmac_f32 v[vgprValuC + 7 + 7*8], v[vgprValuA_X0_I0 + 7], v[vgprValuB_X0_I0 + 7]
s_setprio 0 // Reset priority after macs
.endm
.macro MAC_8x8_X1
// Component.MAC.MAC_F32_Plain
v_fmac_f32 v[vgprValuC + 0 + 0*8], v[vgprValuA_X1_I0 + 0], v[vgprValuB_X1_I0 + 0]
s_setprio 1 // Raise priority while processing macs
v_fmac_f32 v[vgprValuC + 1 + 0*8], v[vgprValuA_X1_I0 + 1], v[vgprValuB_X1_I0 + 0]
v_fmac_f32 v[vgprValuC + 2 + 0*8], v[vgprValuA_X1_I0 + 2], v[vgprValuB_X1_I0 + 0]
	;; [unrolled: 1-line block ×63, first 2 shown]
s_setprio 0 // Reset priority after macs
.endm


	;; [unrolled: 1-line block ×3, first 2 shown]
/******************************************/
/* Allocate Resources                     */
/******************************************/

Cijk_Alik_Bjlk_SB_MT128x128x16_SE_AF0EM1_AMAS3_ASEM1_BL1_DTLA0_DTLB0_EPS1_FL1_GLVWA4_GLVWB4_GRVW4_GSU4_ISA90a_K1_KLA_LPA0_LPB0_LRVW4_MMFGLC_NLCA1_NLCB1_PGR1_PLR1_SUS256_TT8_8_USFGRO0_VAW1_VS1_VW4_VWB4_WS64_WG16_16_1_WGM1_preloaded: // Kernel start when preloading

/* Load Kernel Args */
_s_load_b512 s[28:43], s[sgprKernArgAddress:sgprKernArgAddress+1], 0x0 // 
_s_load_b256 s[44:51], s[sgprKernArgAddress:sgprKernArgAddress+1], 0x40 // 
_s_load_b128 s[52:55], s[sgprKernArgAddress:sgprKernArgAddress+1], 0x60 // 
_s_load_b32 s56, s[sgprKernArgAddress:sgprKernArgAddress+1], 0x70 // 
s_mov_b32 m0, 0x8000                               // LDS clamp at 32768 bytes
v_mov_b32 v[vgprSerial], v0                        // thread serial id

/******************************************/
/* Local Read Addresses                   */
/******************************************/


/* local read addresses: tile assignments a/b */

/*lr0I = serial % SG0I*/
v_lshrrev_b32 v0, 4, v[vgprSerial]                 // v0 = v[vgprSerial] / 16
v_and_b32 v1, 15, v[vgprSerial]                    // v1 = v[vgprSerial] % 16
/*lr1J = (serial / SG1J) % SG1J*/
v_lshrrev_b32 v2, 4, v0                            // v2 = v0 / 16
v_and_b32 v3, 15, v0                               // v3 = v0 % 16


/* local read addresses: final offsets a */

v_lshrrev_b32 v0, 8, v[vgprSerial]                 // LSU offset: sgid = Serial / subGroup(256)
v_lshlrev_b32 v0, 0x7, v0                          // LSU offset: lsuoffset = sgid*(MT0+PAD)
v_lshlrev_b32 v1, 0x2, v1                          // Final Offset: lrAOffset * VW
_v_add_lshl_u32 v[vgprLocalReadAddrA], v0, v1, 0x2 // Final Offset: offset = (lro0*VW+lsuoffset)*bpe


/* local read addresses: final offsets b */

v_lshrrev_b32 v0, 8, v[vgprSerial]                 // LSU offset: sgid = Serial / subGroup(256)
v_lshlrev_b32 v0, 0x7, v0                          // LSU offset: lsuoffset = sgid*(MT1+PAD)
v_lshlrev_b32 v3, 0x2, v3                          // Final Offset: lrBOffset * VW
_v_add_lshl_u32 v[vgprLocalReadAddrB], v0, v3, 0x2 // Final Offset: offset = (lro1*VW+lsuoffset)*bpe


/* local read addresses: declare addresses a */

/* N/A */


/* local read addresses: declare addresses b */

_v_add_co_u32 v[vgprLocalReadAddrB+0], vcc, 0x2000, v[vgprLocalReadAddrB+0] //  += LdsOffsetB (lower)


/* global read addresses: tile offset assignment a */

/* LVCA = 4 */
/* v0 = (local)groA-tile = serial/LVCA (note (wgA*MTA) will be added to SRD) */
/* v1 = groA-unroll = serial%LVCA */
v_lshrrev_b32 v0, 2, v[vgprSerial]                 // v0 = v[vgprSerial] / 4
v_and_b32 v1, 3, v[vgprSerial]                     // v1 = v[vgprSerial] % 4
/* gro-unroll *= glvw */
v_lshlrev_b32 v1, 0x2, v1                          // v1 = v1 * 4
v_mov_b32 v2, v1                                   // copy for GlobalSplitU


/* global read addresses: tile offset assignment b */

/* LVCB = 32 */
/* v3 = (local)groB-tile = serial%LVCB (note (wgB*MTB) will be added to SRD) */
/* v4 = groB-unroll = serial/LVCB */
v_lshrrev_b32 v4, 5, v[vgprSerial]                 // v4 = v[vgprSerial] / 32
v_and_b32 v3, 31, v[vgprSerial]                    // v3 = v[vgprSerial] % 32
/* gro-tile *= glvw */
v_lshlrev_b32 v3, 0x2, v3                          // v3 = v3 * 4
v_mov_b32 v5, v4                                   // copy for GlobalSplitU


/******************************************/
/* Local Write Addresses                  */
/******************************************/

/* lwaTileAssignmentA = v0 */

/* lwaTileAssignmentB = v3 */

/* lwaUnrollAssignmentA = v2 */

/* lwaUnrollAssignmentB = v5 */


/* local write addresses: first offset a */

v_mul_u32_u24 v[vgprLocalWriteAddrA], 0x80, v2     // lwAL**(MTA + PAD)
_v_add_lshl_u32 v[vgprLocalWriteAddrA], v0, v[vgprLocalWriteAddrA], 0x2 // lwFOA = (lwAA + lwAL*(MT0I+PAD))*bpe


/* local write addresses: first offset b */

v_mul_u32_u24 v[vgprLocalWriteAddrB], 0x80, v5     // lwBL**(MTB + PAD)
_v_add_lshl_u32 v[vgprLocalWriteAddrB], v3, v[vgprLocalWriteAddrB], 0x2 // lwFOB = (lwBB + lwBL*(MT1J+PAD))*bpe
_v_add_co_u32 v[vgprLocalWriteAddrB], vcc, 0x2000, v[vgprLocalWriteAddrB] // lwFOB = lwB1J + lwBL*MT1J + LDS_OFFSET_B=2048*4


	;; [unrolled: 1-line block ×7, first 2 shown]
s_waitcnt lgkmcnt(0)                               // wait for 116 bytes of kern args
s_mov_b64 s[sgprSrdC+0:sgprSrdC+0+1], s[sgprAddressC+0:sgprAddressC+0+1] // copy addressC
s_mov_b64 s[sgprSrdD+0:sgprSrdD+0+1], s[sgprAddressD+0:sgprAddressD+0+1] // copy addressD
s_sub_u32 s[sgprSrdA+0], s[sgprAddressA+0], 16     // pre-pad to make room for possible pointer shift
s_subb_u32 s[sgprSrdA+1], s[sgprAddressA+1], 0     // pre-pad to make room for possible pointer shift
s_sub_u32 s[sgprSrdB+0], s[sgprAddressB+0], 16     // pre-pad to make room for possible pointer shift
s_subb_u32 s[sgprSrdB+1], s[sgprAddressB+1], 0     // pre-pad to make room for possible pointer shift

.set AddressD, UNDEF
.set AddressC, UNDEF
.set AddressA, UNDEF
.set AddressB, UNDEF

/* Short circuit condition if Alpha == 0, then sumDims=0 */
v_cmp_eq_f32 vcc, s[sgprAlpha], 0.0                // Alpha == 0.0f ?
s_cbranch_vccz label_AlphaNonZero                  // branch if alpha != 0
s_mov_b32 s[sgprSizesSum+0], 0x0                   // Set summation dim=0 if Alpha == 0
label_AlphaNonZero:


	;; [unrolled: 1-line block ×3, first 2 shown]
/******************************************/
/* Begin setupNewTile, isPap=False           */
/******************************************/


/* global read addresses: work-group */

/* graWorkGroup mapping */
// GSU-not-WGMapRR :nwg1 = (size1J + MT1J - 1) / MT1J;
s_mov_b32 s60, s[sgprWorkGroup1]                   // copying for divisor
s_lshr_b32 s[sgprWorkGroup1], s60, 2               // s[sgprWorkGroup1] = s60 / 4
s_and_b32 s[sgprGSUSumIdx], 3, s60                 // s[sgprGSUSumIdx] = s60 % 4


/* global read addresses: unroll assignment a */

/* v1 */


/* global read addresses: unroll assignment b */

/* v4 */


/* global read addresses: other free assignments */

/* s[sgprWorkGroup2] */


/* global read addresses: tile offsets a */

v_mov_b32 v6, v0                                   // groA0I_0
_v_add_co_u32 v7, vcc, 64, v6                      // groA0I_1 += LSPA


/* global read addresses: tile offsets b */

v_mov_b32 v8, v3                                   // groB1J_0


/* global read addresses: unroll offsets a */

v_mov_b32 v9, v1                                   // groAL_0


/* global read addresses: unroll offsets b */

v_mov_b32 v10, v4                                  // groBL_0
_v_add_co_u32 v11, vcc, 8, v10                     // groBL_1 + LSPB


/* global read addresses: shift b */

s_mul_i32 s57, s[sgprWorkGroup1], 128              // WorkGroup[01] * MT
s_sub_u32 s57, s[sgprSizeJ], s57                   // edge = Size1J - WG*MT
s_sub_u32 s57, s57, 4                              // edge -= margin(4)
v_mov_b32 v12, s57                                 // edge vgpr = Size1J- WG*MT - margin(4)
v_min_i32 v8, v12, v8                              // offset = (offset < edge) ? offset(v8) : edge(v12)


/* global read addresses: final offsets a */

GLOBAL_OFFSET_A vgprGlobalReadOffsetA+0,  9,  6, 12 // gROA_0_0_0_0
GLOBAL_OFFSET_A vgprGlobalReadOffsetA+1,  9,  7, 12 // gROA_0_0_1_0


/* global read addresses: final offsets b */

GLOBAL_OFFSET_B vgprGlobalReadOffsetB+0,  8, 10, 12 // gROB_0_0_0_0
GLOBAL_OFFSET_B vgprGlobalReadOffsetB+1,  8, 11, 12 // gROB_0_0_1_0


/* global read addresses: addresses a */

/* max read offset = size[n] * stride[n-1] */
s_mul_hi_u32 s61, s[sgprWorkGroup0], 128           // WorkGroup[01] * MT
s_mul_i32 s60, s[sgprWorkGroup0], 128              // WorkGroup[01] * MT
s_mul_hi_u32 s61, s60, s[sgprStrideA0I]            // tlu=0, scaled tile-offset by stride
s_mul_i32 s60, s60, s[sgprStrideA0I]               // tlu=0, scaled tile-offset by stride
s_mul_hi_u32 s59, 16, s[sgprGSUSumIdx]             // gsuOffset = DepthU*bpe*GSUSumIdx
s_mul_i32 s58, 16, s[sgprGSUSumIdx]                // gsuOffset = DepthU*bpe*GSUSumIdx
s_add_u32 s60, s60, s58                            // accum GsuOffset term to tilestart
s_addc_u32 s61, s61, s59                           // accum GsuOffset term to tilestart
s_sub_u32 s[sgprShadowLimitA+0], s[sgprTensor2dSizeA], s60 // sub tileStart
s_subb_u32 s[sgprShadowLimitA+1], s[sgprTensor2dSizeA+1], s61 // sub tileStart
s_lshl_b64 s[sgprShadowLimitA:sgprShadowLimitA+1], s[sgprShadowLimitA:sgprShadowLimitA+1], 0x2 // Set limit to use bytes
s_add_u32 s[sgprShadowLimitA+0], s[sgprShadowLimitA+0], 16 // extend limit for pre-pad
s_addc_u32 s[sgprShadowLimitA+1], s[sgprShadowLimitA+1], 0 // extend limit for pre-pad
s_cmp_eq_u32 s[sgprShadowLimitA+1], 0              // are we within 2^32?
s_cselect_b32 s[sgprSrdA+2], s[sgprShadowLimitA+0], BufferLimitA // Move shadow to real if we are within 2^32
s_mul_hi_u32 s59, s[sgprStrideAK], s[sgprWorkGroup2] // Stride*WG
s_mul_i32 s58, s[sgprStrideAK], s[sgprWorkGroup2]  // Stride*WG
s_add_u32 s60, s60, s58                            // accum wg term to tilestart
s_addc_u32 s61, s61, s59                           // accum wg term to tilestart
s_lshl_b64 s[60:61], s[60:61], 0x2                 // tileStart *= BPE
s_add_u32 s[sgprSrdA+0], s[sgprSrdA+0], s60        // SRD base = Address+ tileStart0
s_addc_u32 s[sgprSrdA+1], s[sgprSrdA+1], s61       // SRD base = Address+ tileStart1
s_mov_b32 s[sgprSrdA+3], Srd127_96                 // Set bits 127_96 in SRD


/* global read addresses: addresses b */

/* max read offset = size[n] * stride[n-1] */
s_mul_hi_u32 s61, s[sgprWorkGroup1], 128           // WorkGroup[01] * MT
s_mul_i32 s60, s[sgprWorkGroup1], 128              // WorkGroup[01] * MT
s_mul_hi_u32 s59, 16, s[sgprGSUSumIdx]             // gsuOffset = DepthU*bpe*GSUSumIdx
s_mul_i32 s58, 16, s[sgprGSUSumIdx]                // gsuOffset = DepthU*bpe*GSUSumIdx
s_mul_hi_u32 s59, s58, s[sgprStrideBL]             // tlu=1, scaled unroll-offset by stride
s_mul_i32 s58, s58, s[sgprStrideBL]                // tlu=1, scaled unroll-offset by stride
s_add_u32 s60, s60, s58                            // accum GsuOffset term to tilestart
s_addc_u32 s61, s61, s59                           // accum GsuOffset term to tilestart
s_sub_u32 s[sgprShadowLimitB+0], s[sgprTensor2dSizeB], s60 // sub tileStart
s_subb_u32 s[sgprShadowLimitB+1], s[sgprTensor2dSizeB+1], s61 // sub tileStart
s_lshl_b64 s[sgprShadowLimitB:sgprShadowLimitB+1], s[sgprShadowLimitB:sgprShadowLimitB+1], 0x2 // Set limit to use bytes
s_add_u32 s[sgprShadowLimitB+0], s[sgprShadowLimitB+0], 16 // extend limit for pre-pad
s_addc_u32 s[sgprShadowLimitB+1], s[sgprShadowLimitB+1], 0 // extend limit for pre-pad
s_cmp_eq_u32 s[sgprShadowLimitB+1], 0              // are we within 2^32?
s_cselect_b32 s[sgprSrdB+2], s[sgprShadowLimitB+0], BufferLimitB // Move shadow to real if we are within 2^32
s_mul_hi_u32 s59, s[sgprStrideBK], s[sgprWorkGroup2] // Stride*WG
s_mul_i32 s58, s[sgprStrideBK], s[sgprWorkGroup2]  // Stride*WG
s_add_u32 s60, s60, s58                            // accum wg term to tilestart
s_addc_u32 s61, s61, s59                           // accum wg term to tilestart
s_lshl_b64 s[60:61], s[60:61], 0x2                 // tileStart *= BPE
s_add_u32 s[sgprSrdB+0], s[sgprSrdB+0], s60        // SRD base = Address+ tileStart0
s_addc_u32 s[sgprSrdB+1], s[sgprSrdB+1], s61       // SRD base = Address+ tileStart1
s_mov_b32 s[sgprSrdB+3], Srd127_96                 // Set bits 127_96 in SRD


/* global read addresses: increments a */

s_mov_b32 s[sgprGlobalReadIncsA+0], DepthU*BpeA*4  // incrA (unrollIdx)


/* global read addresses: increments b */

s_mul_i32 s[sgprGlobalReadIncsB+0], DepthU*BpeB*4, s[sgprStrideBL] // incrB unrollIdx)

/* declare loop num iterations */


s_lshr_b32 s[sgprLoopCounterL], s[sgprSizesSum+0], 4 // s[sgprLoopCounterL] = s[sgprSizesSum+0] / 16
s_mov_b32 s60, s[sgprLoopCounterL]                 // copy for divide IterGsu
s_lshr_b32 s[sgprLoopCounterL], s60, 2             // s[sgprLoopCounterL] = s60 / 4
s_and_b32 s[sgprGSUSumIdx+1], 3, s60               // s[sgprGSUSumIdx+1] = s60 % 4
s_add_u32 s58, 1, s[sgprLoopCounterL]              // tmp<-numIterMyWg+
s_cmp_lt_u32 s[sgprGSUSumIdx], s[sgprGSUSumIdx+1]  // gsuSumIdx < numIterPerWgRemainder
s_cmov_b32 s[sgprLoopCounterL], s58                // numIterMyWg++ if needed
s_mov_b32 s[sgprOrigLoopCounter], s[sgprLoopCounterL] // copy loop counter

s_and_b32 s[sgprStaggerUIter], s[sgprOrigStaggerUIter], s[sgprWorkGroup0] // Compute actual stagger start for this tile
s_lshl_b32 s[sgprStaggerUIter], s[sgprStaggerUIter], 2 // shift by StaggerUStride


/* SRDs += (StaggerUIter) * GlobalReadIncsA+0 */
s_mul_hi_u32 s59, s[sgprStaggerUIter], s[sgprGlobalReadIncsA+0] //  stagger byte offset
s_mul_i32 s58, s[sgprStaggerUIter], s[sgprGlobalReadIncsA+0] //  stagger byte offset
s_mul_hi_u32 s[sgprWrapUA+1], s[sgprLoopCounterL], s[sgprGlobalReadIncsA+0] // Number of bytes accessed by the unroll loop
s_mul_i32 s[sgprWrapUA+0], s[sgprLoopCounterL], s[sgprGlobalReadIncsA+0] // Number of bytes accessed by the unroll loop
s_sub_u32 s[sgprWrapUA+0], s[sgprGlobalReadIncsA+0], s[sgprWrapUA+0] // remove one iteration
s_subb_u32 s[sgprWrapUA+1], 0, s[sgprWrapUA+1]     // remove one iteration
s_add_u32 s[sgprSrdA+0], s[sgprSrdA+0], s58        // gra SRD += inc(lower)
s_addc_u32  s[sgprSrdA+1], s[sgprSrdA+1], s59      // gra SRD += inc(upper)
s_sub_u32 s[sgprShadowLimitA+0], s[sgprShadowLimitA+0], s58 // limit -= inc)
s_subb_u32 s[sgprShadowLimitA+1], s[sgprShadowLimitA+1], s59 // limit -= inc)
s_cmp_eq_u32 s[sgprShadowLimitA+1], 0              // are we within 2^32?
s_cselect_b32 s[sgprSrdA+2], s[sgprShadowLimitA+0], BufferLimitA // Move shadow to real if we are within 2^32


/* SRDs += (StaggerUIter) * GlobalReadIncsB+0 */
s_mul_hi_u32 s59, s[sgprStaggerUIter], s[sgprGlobalReadIncsB+0] //  stagger byte offset
s_mul_i32 s58, s[sgprStaggerUIter], s[sgprGlobalReadIncsB+0] //  stagger byte offset
s_mul_hi_u32 s[sgprWrapUB+1], s[sgprLoopCounterL], s[sgprGlobalReadIncsB+0] // Number of bytes accessed by the unroll loop
s_mul_i32 s[sgprWrapUB+0], s[sgprLoopCounterL], s[sgprGlobalReadIncsB+0] // Number of bytes accessed by the unroll loop
s_sub_u32 s[sgprWrapUB+0], s[sgprGlobalReadIncsB+0], s[sgprWrapUB+0] // remove one iteration
s_subb_u32 s[sgprWrapUB+1], 0, s[sgprWrapUB+1]     // remove one iteration
s_add_u32 s[sgprSrdB+0], s[sgprSrdB+0], s58        // gra SRD += inc(lower)
s_addc_u32  s[sgprSrdB+1], s[sgprSrdB+1], s59      // gra SRD += inc(upper)
s_sub_u32 s[sgprShadowLimitB+0], s[sgprShadowLimitB+0], s58 // limit -= inc)
s_subb_u32 s[sgprShadowLimitB+1], s[sgprShadowLimitB+1], s59 // limit -= inc)
s_cmp_eq_u32 s[sgprShadowLimitB+1], 0              // are we within 2^32?
s_cselect_b32 s[sgprSrdB+2], s[sgprShadowLimitB+0], BufferLimitB // Move shadow to real if we are within 2^32
s_add_u32 s[sgprStaggerUIter], s[sgprStaggerUIter], 2 // Subtract (PGR-1); StaggerUIter now contains target iteration to wrap

/* local read addresses: init pointers a */


/* localReadInitPointers */

/* local read addresses: init pointers b */


/* localReadInitPointers */


/* prefetch: global -> local */

s_cmp_eq_u32 s[sgprLoopCounterL], 0                // at last iteration?
s_cbranch_scc1 ShadowInitStart_10                  // skip to ShadowInitStart iter b/c numIter==0


_buffer_load_b128 v[vgprG2LA+0:vgprG2LA+0+3], v[vgprGlobalReadOffsetA+0], s[sgprSrdA:sgprSrdA+3], 0, offen offset:0 // G -> Reg 0_0_0_0
_buffer_load_b128 v[vgprG2LA+4:vgprG2LA+4+3], v[vgprGlobalReadOffsetA+1], s[sgprSrdA:sgprSrdA+3], 0, offen offset:0 // G -> Reg 0_0_1_0


_buffer_load_b128 v[vgprG2LB+0:vgprG2LB+0+3], v[vgprGlobalReadOffsetB+0], s[sgprSrdB:sgprSrdB+3], 0, offen offset:0 // G -> Reg 0_0_0_0
_buffer_load_b128 v[vgprG2LB+4:vgprG2LB+4+3], v[vgprGlobalReadOffsetB+1], s[sgprSrdB:sgprSrdB+3], 0, offen offset:0 // G -> Reg 0_0_1_0


/* global read inc A loopL */
s_add_u32 s60, s[sgprLoopCounterL], 1              // remove pf(1)
s_cmp_eq_u32 s[sgprStaggerUIter], s60              // Is this wrapIter? (pf)
s_cselect_b32 s58, s[sgprWrapUA+0], s[sgprGlobalReadIncsA+0] // incLower <- ?
s_cselect_b32 s59, s[sgprWrapUA+1], 0              // incUpper <- ?
s_add_u32 s[sgprSrdA+0], s[sgprSrdA+0], s58        // gra SRD += inc(lower)
s_addc_u32  s[sgprSrdA+1], s[sgprSrdA+1], s59      // gra SRD += inc(upper)
s_sub_u32 s[sgprShadowLimitA+0], s[sgprShadowLimitA+0], s58 // limit -= inc)
s_subb_u32 s[sgprShadowLimitA+1], s[sgprShadowLimitA+1], s59 // limit -= inc)
s_cmp_eq_u32 s[sgprShadowLimitA+1], 0              // are we within 2^32?
s_cselect_b32 s[sgprSrdA+2], s[sgprShadowLimitA+0], BufferLimitA // Move shadow to real if we are within 2^32

/* global read inc B loopL */
s_add_u32 s60, s[sgprLoopCounterL], 1              // remove pf(1)
s_cmp_eq_u32 s[sgprStaggerUIter], s60              // Is this wrapIter? (pf)
s_cselect_b32 s58, s[sgprWrapUB+0], s[sgprGlobalReadIncsB+0] // incLower <- ?
s_cselect_b32 s59, s[sgprWrapUB+1], 0              // incUpper <- ?
s_add_u32 s[sgprSrdB+0], s[sgprSrdB+0], s58        // gra SRD += inc(lower)
s_addc_u32  s[sgprSrdB+1], s[sgprSrdB+1], s59      // gra SRD += inc(upper)
s_sub_u32 s[sgprShadowLimitB+0], s[sgprShadowLimitB+0], s58 // limit -= inc)
s_subb_u32 s[sgprShadowLimitB+1], s[sgprShadowLimitB+1], s59 // limit -= inc)
s_cmp_eq_u32 s[sgprShadowLimitB+1], 0              // are we within 2^32?
s_cselect_b32 s[sgprSrdB+2], s[sgprShadowLimitB+0], BufferLimitB // Move shadow to real if we are within 2^32


/******************************************/
/* End setupNewTile, isPap=False             */
/******************************************/

ShadowInitStart_10: // 

s_mov_b32 s[sgprSrdD+2], BufferOOB                 // 
s_mov_b32 s[sgprSrdD+3], Srd127_96                 // Set bits 127_96 in post-loop SRD

s_mov_b32 s[sgprSrdC+2], BufferOOB                 // 
s_mov_b32 s[sgprSrdC+3], Srd127_96                 // Set bits 127_96 in post-loop SRD


s_mul_i32 s60, MT1, s[sgprWorkGroup1]              // <- wg1*MT1
s_mul_hi_u32 s59, s60, s[sgprStrideC1J]            // CScale s60 by Stride
s_mul_i32 s58, s60, s[sgprStrideC1J]               // CScale s60 by Stride
s_lshl_b64 s[58:59], s[58:59], 2                   // scale by bpe
s_add_u32 s[sgprSrdC+0], s[sgprSrdC+0], s58        // add lo to SRD
s_addc_u32 s[sgprSrdC+1], s[sgprSrdC+1], s59       // add hi to SRD
s_mul_hi_u32 s59, s60, s[sgprStrideD1J]            // Scale s60 by Stride
s_mul_i32 s58, s60, s[sgprStrideD1J]               // Scale s60 by Stride
s_lshl_b64 s[58:59], s[58:59], 2                   // scale by bpe
s_add_u32 s[sgprSrdD+0], s[sgprSrdD+0], s58        // add lo to SRD
s_addc_u32 s[sgprSrdD+1], s[sgprSrdD+1], s59       // add hi to SRD

s_mul_hi_u32 s59, s[sgprWorkGroup2], s[sgprStrideCK] // CScale s[sgprWorkGroup2] by Stride
s_mul_i32 s58, s[sgprWorkGroup2], s[sgprStrideCK]  // CScale s[sgprWorkGroup2] by Stride
s_lshl_b64 s[58:59], s[58:59], 2                   // scale by bpe
s_add_u32 s[sgprSrdC+0], s[sgprSrdC+0], s58        // add lo to SRD
s_addc_u32 s[sgprSrdC+1], s[sgprSrdC+1], s59       // add hi to SRD
s_mul_hi_u32 s59, s[sgprWorkGroup2], s[sgprStrideDK] // Scale s[sgprWorkGroup2] by Stride
s_mul_i32 s58, s[sgprWorkGroup2], s[sgprStrideDK]  // Scale s[sgprWorkGroup2] by Stride
s_lshl_b64 s[58:59], s[58:59], 2                   // scale by bpe
s_add_u32 s[sgprSrdD+0], s[sgprSrdD+0], s58        // add lo to SRD
s_addc_u32 s[sgprSrdD+1], s[sgprSrdD+1], s59       // add hi to SRD


	;; [unrolled: 1-line block ×3, first 2 shown]
/* initC: remove C-tile 0-64 from pool */

/* initC: remove AB-tile 64-96 from pool */
v_mov_b32 v[vgprValuC+0], 0x0                      // initC
v_mov_b32 v[vgprValuC+1], 0x0                      // initC
v_mov_b32 v[vgprValuC+2], 0x0                      // initC
v_mov_b32 v[vgprValuC+3], 0x0                      // initC
v_mov_b32 v[vgprValuC+4], 0x0                      // initC
v_mov_b32 v[vgprValuC+5], 0x0                      // initC
v_mov_b32 v[vgprValuC+6], 0x0                      // initC
v_mov_b32 v[vgprValuC+7], 0x0                      // initC
v_mov_b32 v[vgprValuC+8], 0x0                      // initC
v_mov_b32 v[vgprValuC+9], 0x0                      // initC
v_mov_b32 v[vgprValuC+10], 0x0                     // initC
v_mov_b32 v[vgprValuC+11], 0x0                     // initC
	;; [unrolled: 1-line block ×54, first 2 shown]

s_cmp_eq_u32 s[sgprLoopCounterL], 0                // at last iteration?

/* after InitC, skip to end of prefetch last iter if numIter==0 */
s_cbranch_scc0 label_NoBranch_11                   // Only branch on scc1
s_getpc_B64 s[58:59]                               // addr of next instr
s_add_i32 s60, PrefetchGlobalLastIterEnd_5, 0x4    // target branch offset
s_add_u32 s58, s58, s60                            // add target branch offset
s_addc_u32 s59, s59, 0                             // add high and carry
s_setpc_b64 s[58:59]                               // branch to PrefetchGlobalLastIterEnd_5
label_NoBranch_11:

s_waitcnt vmcnt(0)                                 // lgkmcnt=-1 vmcnt=0 8wait for global read


/* local write a */
_ds_store_b32 v[vgprLocalWriteAddrA], v[vgprG2LA+0] offset:0 // lwoA_0_0_0_0 = (0 + 0*LSCA)*(MT0I+PAD) + (0*LSPA) = 0
_ds_store_b32 v[vgprLocalWriteAddrA], v[vgprG2LA+1] offset:512 // lwoA_0_1_0_0 = (1 + 0*LSCA)*(MT0I+PAD) + (0*LSPA) = 512
_ds_store_b32 v[vgprLocalWriteAddrA], v[vgprG2LA+2] offset:1024 // lwoA_0_2_0_0 = (2 + 0*LSCA)*(MT0I+PAD) + (0*LSPA) = 1024
_ds_store_b32 v[vgprLocalWriteAddrA], v[vgprG2LA+3] offset:1536 // lwoA_0_3_0_0 = (3 + 0*LSCA)*(MT0I+PAD) + (0*LSPA) = 1536
_ds_store_b32 v[vgprLocalWriteAddrA], v[vgprG2LA+4] offset:256 // lwoA_0_0_1_0 = (0 + 0*LSCA)*(MT0I+PAD) + (1*LSPA) = 256
_ds_store_b32 v[vgprLocalWriteAddrA], v[vgprG2LA+5] offset:768 // lwoA_0_1_1_0 = (1 + 0*LSCA)*(MT0I+PAD) + (1*LSPA) = 768
_ds_store_b32 v[vgprLocalWriteAddrA], v[vgprG2LA+6] offset:1280 // lwoA_0_2_1_0 = (2 + 0*LSCA)*(MT0I+PAD) + (1*LSPA) = 1280
_ds_store_b32 v[vgprLocalWriteAddrA], v[vgprG2LA+7] offset:1792 // lwoA_0_3_1_0 = (3 + 0*LSCA)*(MT0I+PAD) + (1*LSPA) = 1792

/* local write b */
_ds_store_b128 v[vgprLocalWriteAddrB], v[vgprG2LB+0:vgprG2LB+0+3] offset:0 // lwoB_0_0_0_0 = (0*LSCB) + (0*LSPB)(*MT1J+PAD) = 0
_ds_store_b128 v[vgprLocalWriteAddrB], v[vgprG2LB+4:vgprG2LB+4+3] offset:4096 // lwoB_0_0_1_0 = (0*LSCB) + (1*LSPB)(*MT1J+PAD) = 4096


/* local write swap a */


/* (EPS=1) local write swap internal offset -> 16384 */


/* local write swap b */


/* (EPS=1) local write swap internal offset -> 16384 */


	;; [unrolled: 1-line block ×3, first 2 shown]
s_waitcnt lgkmcnt(0)                               // lgkmcnt=0 vmcnt=-10prefetch wait for local write

s_waitcnt lgkmcnt(0) & vmcnt(0)                    // force waitcnt0
s_barrier //


/* local read prefetch a */

_ds_load_b128 v[vgprValuA_X0_I0+0:vgprValuA_X0_I0+0+3], v[vgprLocalReadAddrA] offset:0 // L -> Reg lro=0 swapByteOffset=0 ti=16 vIdx=0 rIdx=0 oIdx=0 buffer=0 iui=0
_ds_load_b128 v[vgprValuA_X0_I0+4:vgprValuA_X0_I0+4+3], v[vgprLocalReadAddrA] offset:256 // L -> Reg lro=0 swapByteOffset=0 ti=16 vIdx=1 rIdx=0 oIdx=0 buffer=0 iui=0


/* local read prefetch b */

_ds_load_b128 v[vgprValuB_X0_I0+0:vgprValuB_X0_I0+0+3], v[vgprLocalReadAddrB] offset:0 // L -> Reg lro=0 swapByteOffset=0 ti=16 vIdx=0 rIdx=0 oIdx=0 buffer=0 iui=0
_ds_load_b128 v[vgprValuB_X0_I0+4:vgprValuB_X0_I0+4+3], v[vgprLocalReadAddrB] offset:256 // L -> Reg lro=0 swapByteOffset=0 ti=16 vIdx=1 rIdx=0 oIdx=0 buffer=0 iui=0


/* local read inc a */

/* N/A, lro->128 */
/* self.localReadDoCntA 0 self.localReadDoCntB 0 */


/* local read inc b */

/* N/A, lro->128 */
/* self.localReadDoCntA 0 self.localReadDoCntB 0 */



/******************************************/
/* Unrolled Loop(s) - Begin               */
/******************************************/

openLoopL_12:
s_cmp_le_u32 s[sgprLoopCounterL], 0x1              // LoopCounterL < EndCounter
s_cbranch_scc1 LoopEndL_2                          // do not enter LoopL
LoopBeginL_1:


/******************************************/
/* Unrolled Loop 1/2 - Begin              */
/******************************************/

label_0013: // LoopCopy1 


/* Begin Each Unroll: Check VGPR.checkin for INT8 LW */


	;; [unrolled: 1-line block ×3, first 2 shown]
/* iter 0 */


/* local read a */
_ds_load_b128 v[vgprValuA_X1_I0+0:vgprValuA_X1_I0+0+3], v[vgprLocalReadAddrA] offset:512 // L -> Reg lro=128 swapByteOffset=0 ti=16 vIdx=0 rIdx=0 oIdx=0 buffer=1 iui=0
_ds_load_b128 v[vgprValuA_X1_I0+4:vgprValuA_X1_I0+4+3], v[vgprLocalReadAddrA] offset:768 // L -> Reg lro=128 swapByteOffset=0 ti=16 vIdx=1 rIdx=0 oIdx=0 buffer=1 iui=0
_buffer_load_b128 v[vgprG2LA+0:vgprG2LA+0+3], v[vgprGlobalReadOffsetA+0], s[sgprSrdA:sgprSrdA+3], 0, offen offset:0 // G -> Reg 0_0_0_0

/* local read b */
_ds_load_b128 v[vgprValuB_X1_I0+0:vgprValuB_X1_I0+0+3], v[vgprLocalReadAddrB] offset:512 // L -> Reg lro=128 swapByteOffset=0 ti=16 vIdx=0 rIdx=0 oIdx=0 buffer=1 iui=0
_ds_load_b128 v[vgprValuB_X1_I0+4:vgprValuB_X1_I0+4+3], v[vgprLocalReadAddrB] offset:768 // L -> Reg lro=128 swapByteOffset=0 ti=16 vIdx=1 rIdx=0 oIdx=0 buffer=1 iui=0

/* local read increment a */
/* N/A, lro->256 */
/* self.localReadDoCntA 0 self.localReadDoCntB 0 */

/* local read increment b */
/* N/A, lro->256 */
/* self.localReadDoCntA 0 self.localReadDoCntB 0 */
s_waitcnt lgkmcnt(4)                               // lgkmcnt=0 vmcnt=-1wait for prior local read local write old=0, new=4 newLW=0 newLR=0
MAC_8x8_X0

/* iter 1 */


/* local read a */
_ds_load_b128 v[vgprValuA_X0_I0+0:vgprValuA_X0_I0+0+3], v[vgprLocalReadAddrA] offset:1024 // L -> Reg lro=256 swapByteOffset=0 ti=16 vIdx=0 rIdx=0 oIdx=0 buffer=0 iui=0
_ds_load_b128 v[vgprValuA_X0_I0+4:vgprValuA_X0_I0+4+3], v[vgprLocalReadAddrA] offset:1280 // L -> Reg lro=256 swapByteOffset=0 ti=16 vIdx=1 rIdx=0 oIdx=0 buffer=0 iui=0
_buffer_load_b128 v[vgprG2LA+4:vgprG2LA+4+3], v[vgprGlobalReadOffsetA+1], s[sgprSrdA:sgprSrdA+3], 0, offen offset:0 // G -> Reg 0_0_1_0

/* local read b */
_ds_load_b128 v[vgprValuB_X0_I0+0:vgprValuB_X0_I0+0+3], v[vgprLocalReadAddrB] offset:1024 // L -> Reg lro=256 swapByteOffset=0 ti=16 vIdx=0 rIdx=0 oIdx=0 buffer=0 iui=0
_ds_load_b128 v[vgprValuB_X0_I0+4:vgprValuB_X0_I0+4+3], v[vgprLocalReadAddrB] offset:1280 // L -> Reg lro=256 swapByteOffset=0 ti=16 vIdx=1 rIdx=0 oIdx=0 buffer=0 iui=0

/* local read increment a */
/* N/A, lro->384 */
/* self.localReadDoCntA 0 self.localReadDoCntB 0 */

/* local read increment b */
/* N/A, lro->384 */
/* self.localReadDoCntA 0 self.localReadDoCntB 0 */
s_waitcnt lgkmcnt(4)                               // lgkmcnt=0 vmcnt=-1wait for prior local read local write old=0, new=4 newLW=0 newLR=0
MAC_8x8_X1

/* iter 2 */


/* local read a */
_ds_load_b128 v[vgprValuA_X1_I0+0:vgprValuA_X1_I0+0+3], v[vgprLocalReadAddrA] offset:1536 // L -> Reg lro=384 swapByteOffset=0 ti=16 vIdx=0 rIdx=0 oIdx=0 buffer=1 iui=0
_ds_load_b128 v[vgprValuA_X1_I0+4:vgprValuA_X1_I0+4+3], v[vgprLocalReadAddrA] offset:1792 // L -> Reg lro=384 swapByteOffset=0 ti=16 vIdx=1 rIdx=0 oIdx=0 buffer=1 iui=0
_buffer_load_b128 v[vgprG2LB+0:vgprG2LB+0+3], v[vgprGlobalReadOffsetB+0], s[sgprSrdB:sgprSrdB+3], 0, offen offset:0 // G -> Reg 0_0_0_0

/* local read b */
_ds_load_b128 v[vgprValuB_X1_I0+0:vgprValuB_X1_I0+0+3], v[vgprLocalReadAddrB] offset:1536 // L -> Reg lro=384 swapByteOffset=0 ti=16 vIdx=0 rIdx=0 oIdx=0 buffer=1 iui=0
_ds_load_b128 v[vgprValuB_X1_I0+4:vgprValuB_X1_I0+4+3], v[vgprLocalReadAddrB] offset:1792 // L -> Reg lro=384 swapByteOffset=0 ti=16 vIdx=1 rIdx=0 oIdx=0 buffer=1 iui=0

/* local read increment a */
/* N/A, lro->512 */
/* self.localReadDoCntA 0 self.localReadDoCntB 0 */

/* local read increment b */
/* N/A, lro->512 */
/* self.localReadDoCntA 0 self.localReadDoCntB 0 */
s_waitcnt lgkmcnt(4)                               // lgkmcnt=0 vmcnt=-1wait for prior local read local write old=0, new=4 newLW=0 newLR=0
MAC_8x8_X0

/* iter 3 */


/* local read a */
_ds_load_b128 v[vgprValuA_X0_I0+0:vgprValuA_X0_I0+0+3], v[vgprLocalReadAddrA] offset:2048 // L -> Reg lro=512 swapByteOffset=0 ti=16 vIdx=0 rIdx=0 oIdx=0 buffer=0 iui=0
_ds_load_b128 v[vgprValuA_X0_I0+4:vgprValuA_X0_I0+4+3], v[vgprLocalReadAddrA] offset:2304 // L -> Reg lro=512 swapByteOffset=0 ti=16 vIdx=1 rIdx=0 oIdx=0 buffer=0 iui=0
_buffer_load_b128 v[vgprG2LB+4:vgprG2LB+4+3], v[vgprGlobalReadOffsetB+1], s[sgprSrdB:sgprSrdB+3], 0, offen offset:0 // G -> Reg 0_0_1_0

/* local read b */
_ds_load_b128 v[vgprValuB_X0_I0+0:vgprValuB_X0_I0+0+3], v[vgprLocalReadAddrB] offset:2048 // L -> Reg lro=512 swapByteOffset=0 ti=16 vIdx=0 rIdx=0 oIdx=0 buffer=0 iui=0
_ds_load_b128 v[vgprValuB_X0_I0+4:vgprValuB_X0_I0+4+3], v[vgprLocalReadAddrB] offset:2304 // L -> Reg lro=512 swapByteOffset=0 ti=16 vIdx=1 rIdx=0 oIdx=0 buffer=0 iui=0

/* local read increment a */
/* N/A, lro->640 */
/* self.localReadDoCntA 0 self.localReadDoCntB 0 */

/* local read increment b */
/* N/A, lro->640 */
/* self.localReadDoCntA 0 self.localReadDoCntB 0 */
s_waitcnt lgkmcnt(4)                               // lgkmcnt=0 vmcnt=-1wait for prior local read local write old=0, new=4 newLW=0 newLR=0
MAC_8x8_X1

/* iter 4 */


/* local read a */
_ds_load_b128 v[vgprValuA_X1_I0+0:vgprValuA_X1_I0+0+3], v[vgprLocalReadAddrA] offset:2560 // L -> Reg lro=640 swapByteOffset=0 ti=16 vIdx=0 rIdx=0 oIdx=0 buffer=1 iui=0
_ds_load_b128 v[vgprValuA_X1_I0+4:vgprValuA_X1_I0+4+3], v[vgprLocalReadAddrA] offset:2816 // L -> Reg lro=640 swapByteOffset=0 ti=16 vIdx=1 rIdx=0 oIdx=0 buffer=1 iui=0

/* global read inc A loopL */
s_cmp_eq_u32 s[sgprLoopCounterL], s[sgprStaggerUIter] // Is this the wrapIter?
s_cselect_b32 s58, s[sgprWrapUA+0], s[sgprGlobalReadIncsA+0] // incLower <- ?
s_cselect_b32 s59, s[sgprWrapUA+1], 0              // incUpper <- ?
s_add_u32 s[sgprSrdA+0], s[sgprSrdA+0], s58        // gra SRD += inc(lower)
s_addc_u32  s[sgprSrdA+1], s[sgprSrdA+1], s59      // gra SRD += inc(upper)
s_sub_u32 s[sgprShadowLimitA+0], s[sgprShadowLimitA+0], s58 // limit -= inc)
s_subb_u32 s[sgprShadowLimitA+1], s[sgprShadowLimitA+1], s59 // limit -= inc)
s_cmp_eq_u32 s[sgprShadowLimitA+1], 0              // are we within 2^32?
s_cselect_b32 s[sgprSrdA+2], s[sgprShadowLimitA+0], BufferLimitA // Move shadow to real if we are within 2^32

/* local read b */
_ds_load_b128 v[vgprValuB_X1_I0+0:vgprValuB_X1_I0+0+3], v[vgprLocalReadAddrB] offset:2560 // L -> Reg lro=640 swapByteOffset=0 ti=16 vIdx=0 rIdx=0 oIdx=0 buffer=1 iui=0
_ds_load_b128 v[vgprValuB_X1_I0+4:vgprValuB_X1_I0+4+3], v[vgprLocalReadAddrB] offset:2816 // L -> Reg lro=640 swapByteOffset=0 ti=16 vIdx=1 rIdx=0 oIdx=0 buffer=1 iui=0

/* local read increment a */
/* N/A, lro->768 */
/* self.localReadDoCntA 0 self.localReadDoCntB 0 */

/* local read increment b */
/* N/A, lro->768 */
/* self.localReadDoCntA 0 self.localReadDoCntB 0 */
s_waitcnt lgkmcnt(4)                               // lgkmcnt=0 vmcnt=-1wait for prior local read local write old=0, new=4 newLW=0 newLR=0
MAC_8x8_X0

/* iter 5 */


/* local read a */
_ds_load_b128 v[vgprValuA_X0_I0+0:vgprValuA_X0_I0+0+3], v[vgprLocalReadAddrA] offset:3072 // L -> Reg lro=768 swapByteOffset=0 ti=16 vIdx=0 rIdx=0 oIdx=0 buffer=0 iui=0
_ds_load_b128 v[vgprValuA_X0_I0+4:vgprValuA_X0_I0+4+3], v[vgprLocalReadAddrA] offset:3328 // L -> Reg lro=768 swapByteOffset=0 ti=16 vIdx=1 rIdx=0 oIdx=0 buffer=0 iui=0

/* global read inc B loopL */
s_cmp_eq_u32 s[sgprLoopCounterL], s[sgprStaggerUIter] // Is this the wrapIter?
s_cselect_b32 s58, s[sgprWrapUB+0], s[sgprGlobalReadIncsB+0] // incLower <- ?
s_cselect_b32 s59, s[sgprWrapUB+1], 0              // incUpper <- ?
s_add_u32 s[sgprSrdB+0], s[sgprSrdB+0], s58        // gra SRD += inc(lower)
s_addc_u32  s[sgprSrdB+1], s[sgprSrdB+1], s59      // gra SRD += inc(upper)
s_sub_u32 s[sgprShadowLimitB+0], s[sgprShadowLimitB+0], s58 // limit -= inc)
s_subb_u32 s[sgprShadowLimitB+1], s[sgprShadowLimitB+1], s59 // limit -= inc)
s_cmp_eq_u32 s[sgprShadowLimitB+1], 0              // are we within 2^32?
s_cselect_b32 s[sgprSrdB+2], s[sgprShadowLimitB+0], BufferLimitB // Move shadow to real if we are within 2^32

/* local read b */
_ds_load_b128 v[vgprValuB_X0_I0+0:vgprValuB_X0_I0+0+3], v[vgprLocalReadAddrB] offset:3072 // L -> Reg lro=768 swapByteOffset=0 ti=16 vIdx=0 rIdx=0 oIdx=0 buffer=0 iui=0
_ds_load_b128 v[vgprValuB_X0_I0+4:vgprValuB_X0_I0+4+3], v[vgprLocalReadAddrB] offset:3328 // L -> Reg lro=768 swapByteOffset=0 ti=16 vIdx=1 rIdx=0 oIdx=0 buffer=0 iui=0

/* local read increment a */
/* N/A, lro->896 */
/* self.localReadDoCntA 0 self.localReadDoCntB 0 */

/* local read increment b */
/* N/A, lro->896 */
/* self.localReadDoCntA 0 self.localReadDoCntB 0 */
s_waitcnt lgkmcnt(4)                               // lgkmcnt=0 vmcnt=-1wait for prior local read local write old=0, new=4 newLW=0 newLR=0
MAC_8x8_X1

/* iter 6 */


/* local read a */
_ds_load_b128 v[vgprValuA_X1_I0+0:vgprValuA_X1_I0+0+3], v[vgprLocalReadAddrA] offset:3584 // L -> Reg lro=896 swapByteOffset=0 ti=16 vIdx=0 rIdx=0 oIdx=0 buffer=1 iui=0
_ds_load_b128 v[vgprValuA_X1_I0+4:vgprValuA_X1_I0+4+3], v[vgprLocalReadAddrA] offset:3840 // L -> Reg lro=896 swapByteOffset=0 ti=16 vIdx=1 rIdx=0 oIdx=0 buffer=1 iui=0

/* local read b */
_ds_load_b128 v[vgprValuB_X1_I0+0:vgprValuB_X1_I0+0+3], v[vgprLocalReadAddrB] offset:3584 // L -> Reg lro=896 swapByteOffset=0 ti=16 vIdx=0 rIdx=0 oIdx=0 buffer=1 iui=0
_ds_load_b128 v[vgprValuB_X1_I0+4:vgprValuB_X1_I0+4+3], v[vgprLocalReadAddrB] offset:3840 // L -> Reg lro=896 swapByteOffset=0 ti=16 vIdx=1 rIdx=0 oIdx=0 buffer=1 iui=0

/* local read increment a */
/* N/A, lro->1024 */
/* self.localReadDoCntA 0 self.localReadDoCntB 0 */

/* local read increment b */
/* N/A, lro->1024 */
/* self.localReadDoCntA 0 self.localReadDoCntB 0 */
s_waitcnt lgkmcnt(4)                               // lgkmcnt=0 vmcnt=-1wait for prior local read local write old=0, new=4 newLW=0 newLR=0
MAC_8x8_X0

/* iter 7 */


/* local read a */
_ds_load_b128 v[vgprValuA_X0_I0+0:vgprValuA_X0_I0+0+3], v[vgprLocalReadAddrA] offset:4096 // L -> Reg lro=1024 swapByteOffset=0 ti=16 vIdx=0 rIdx=0 oIdx=0 buffer=0 iui=0
_ds_load_b128 v[vgprValuA_X0_I0+4:vgprValuA_X0_I0+4+3], v[vgprLocalReadAddrA] offset:4352 // L -> Reg lro=1024 swapByteOffset=0 ti=16 vIdx=1 rIdx=0 oIdx=0 buffer=0 iui=0

/* local read b */
_ds_load_b128 v[vgprValuB_X0_I0+0:vgprValuB_X0_I0+0+3], v[vgprLocalReadAddrB] offset:4096 // L -> Reg lro=1024 swapByteOffset=0 ti=16 vIdx=0 rIdx=0 oIdx=0 buffer=0 iui=0
_ds_load_b128 v[vgprValuB_X0_I0+4:vgprValuB_X0_I0+4+3], v[vgprLocalReadAddrB] offset:4352 // L -> Reg lro=1024 swapByteOffset=0 ti=16 vIdx=1 rIdx=0 oIdx=0 buffer=0 iui=0

/* local read increment a */
/* N/A, lro->1152 */
/* self.localReadDoCntA 0 self.localReadDoCntB 0 */

/* local read increment b */
/* N/A, lro->1152 */
/* self.localReadDoCntA 0 self.localReadDoCntB 0 */
s_waitcnt lgkmcnt(4)                               // lgkmcnt=0 vmcnt=-1wait for prior local read local write old=0, new=4 newLW=0 newLR=0
MAC_8x8_X1

/* iter 8 */


/* local read a */
_ds_load_b128 v[vgprValuA_X1_I0+0:vgprValuA_X1_I0+0+3], v[vgprLocalReadAddrA] offset:4608 // L -> Reg lro=1152 swapByteOffset=0 ti=16 vIdx=0 rIdx=0 oIdx=0 buffer=1 iui=0
_ds_load_b128 v[vgprValuA_X1_I0+4:vgprValuA_X1_I0+4+3], v[vgprLocalReadAddrA] offset:4864 // L -> Reg lro=1152 swapByteOffset=0 ti=16 vIdx=1 rIdx=0 oIdx=0 buffer=1 iui=0

/* local read b */
_ds_load_b128 v[vgprValuB_X1_I0+0:vgprValuB_X1_I0+0+3], v[vgprLocalReadAddrB] offset:4608 // L -> Reg lro=1152 swapByteOffset=0 ti=16 vIdx=0 rIdx=0 oIdx=0 buffer=1 iui=0
_ds_load_b128 v[vgprValuB_X1_I0+4:vgprValuB_X1_I0+4+3], v[vgprLocalReadAddrB] offset:4864 // L -> Reg lro=1152 swapByteOffset=0 ti=16 vIdx=1 rIdx=0 oIdx=0 buffer=1 iui=0

/* local read increment a */
/* N/A, lro->1280 */
/* self.localReadDoCntA 0 self.localReadDoCntB 0 */

/* local read increment b */
/* N/A, lro->1280 */
/* self.localReadDoCntA 0 self.localReadDoCntB 0 */
s_waitcnt lgkmcnt(4)                               // lgkmcnt=0 vmcnt=-1wait for prior local read local write old=0, new=4 newLW=0 newLR=0
MAC_8x8_X0

/* iter 9 */


/* local read a */
_ds_load_b128 v[vgprValuA_X0_I0+0:vgprValuA_X0_I0+0+3], v[vgprLocalReadAddrA] offset:5120 // L -> Reg lro=1280 swapByteOffset=0 ti=16 vIdx=0 rIdx=0 oIdx=0 buffer=0 iui=0
_ds_load_b128 v[vgprValuA_X0_I0+4:vgprValuA_X0_I0+4+3], v[vgprLocalReadAddrA] offset:5376 // L -> Reg lro=1280 swapByteOffset=0 ti=16 vIdx=1 rIdx=0 oIdx=0 buffer=0 iui=0
	;; [unrolled: 42-line block ×3, first 2 shown]

/* local read b */
_ds_load_b128 v[vgprValuB_X0_I0+0:vgprValuB_X0_I0+0+3], v[vgprLocalReadAddrB] offset:6144 // L -> Reg lro=1536 swapByteOffset=0 ti=16 vIdx=0 rIdx=0 oIdx=0 buffer=0 iui=0
_ds_load_b128 v[vgprValuB_X0_I0+4:vgprValuB_X0_I0+4+3], v[vgprLocalReadAddrB] offset:6400 // L -> Reg lro=1536 swapByteOffset=0 ti=16 vIdx=1 rIdx=0 oIdx=0 buffer=0 iui=0

/* local read increment a */
/* N/A, lro->1664 */
/* self.localReadDoCntA 0 self.localReadDoCntB 0 */

/* local read increment b */
/* N/A, lro->1664 */
/* self.localReadDoCntA 0 self.localReadDoCntB 0 */
/* sched write - iter 11 writesPerItem=4 */
s_waitcnt vmcnt(0)                                 // lgkmcnt=-1 vmcnt=0wait for global read before writing to local
_ds_store_b32 v[vgprLocalWriteAddrA], v[vgprG2LA+0] offset:16384 // lwoA_0_0_0_0 = (0 + 0*LSCA)*(MT0I+PAD) + (0*LSPA) = 16384
_ds_store_b32 v[vgprLocalWriteAddrA], v[vgprG2LA+1] offset:16896 // lwoA_0_1_0_0 = (1 + 0*LSCA)*(MT0I+PAD) + (0*LSPA) = 16896
_ds_store_b32 v[vgprLocalWriteAddrA], v[vgprG2LA+2] offset:17408 // lwoA_0_2_0_0 = (2 + 0*LSCA)*(MT0I+PAD) + (0*LSPA) = 17408
_ds_store_b32 v[vgprLocalWriteAddrA], v[vgprG2LA+3] offset:17920 // lwoA_0_3_0_0 = (3 + 0*LSCA)*(MT0I+PAD) + (0*LSPA) = 17920
s_waitcnt lgkmcnt(8)                               // lgkmcnt=0 vmcnt=-1wait for prior local read local write old=0, new=8 newLW=0 newLR=0
MAC_8x8_X1

/* iter 12 */


/* local read a */
_ds_load_b128 v[vgprValuA_X1_I0+0:vgprValuA_X1_I0+0+3], v[vgprLocalReadAddrA] offset:6656 // L -> Reg lro=1664 swapByteOffset=0 ti=16 vIdx=0 rIdx=0 oIdx=0 buffer=1 iui=0
_ds_load_b128 v[vgprValuA_X1_I0+4:vgprValuA_X1_I0+4+3], v[vgprLocalReadAddrA] offset:6912 // L -> Reg lro=1664 swapByteOffset=0 ti=16 vIdx=1 rIdx=0 oIdx=0 buffer=1 iui=0

/* local read b */
_ds_load_b128 v[vgprValuB_X1_I0+0:vgprValuB_X1_I0+0+3], v[vgprLocalReadAddrB] offset:6656 // L -> Reg lro=1664 swapByteOffset=0 ti=16 vIdx=0 rIdx=0 oIdx=0 buffer=1 iui=0
_ds_load_b128 v[vgprValuB_X1_I0+4:vgprValuB_X1_I0+4+3], v[vgprLocalReadAddrB] offset:6912 // L -> Reg lro=1664 swapByteOffset=0 ti=16 vIdx=1 rIdx=0 oIdx=0 buffer=1 iui=0

/* local read increment a */
/* N/A, lro->1792 */
/* self.localReadDoCntA 0 self.localReadDoCntB 0 */

/* local read increment b */
/* N/A, lro->1792 */
/* self.localReadDoCntA 0 self.localReadDoCntB 0 */
/* sched write - iter 12 writesPerItem=4 */
s_waitcnt vmcnt(0)                                 // lgkmcnt=-1 vmcnt=0wait for global read before writing to local
_ds_store_b32 v[vgprLocalWriteAddrA], v[vgprG2LA+4] offset:16640 // lwoA_0_0_1_0 = (0 + 0*LSCA)*(MT0I+PAD) + (1*LSPA) = 16640
_ds_store_b32 v[vgprLocalWriteAddrA], v[vgprG2LA+5] offset:17152 // lwoA_0_1_1_0 = (1 + 0*LSCA)*(MT0I+PAD) + (1*LSPA) = 17152
_ds_store_b32 v[vgprLocalWriteAddrA], v[vgprG2LA+6] offset:17664 // lwoA_0_2_1_0 = (2 + 0*LSCA)*(MT0I+PAD) + (1*LSPA) = 17664
_ds_store_b32 v[vgprLocalWriteAddrA], v[vgprG2LA+7] offset:18176 // lwoA_0_3_1_0 = (3 + 0*LSCA)*(MT0I+PAD) + (1*LSPA) = 18176
s_waitcnt lgkmcnt(8)                               // lgkmcnt=0 vmcnt=-1wait for prior local read local write old=0, new=8 newLW=0 newLR=0
MAC_8x8_X0

/* iter 13 */


/* local read a */
_ds_load_b128 v[vgprValuA_X0_I0+0:vgprValuA_X0_I0+0+3], v[vgprLocalReadAddrA] offset:7168 // L -> Reg lro=1792 swapByteOffset=0 ti=16 vIdx=0 rIdx=0 oIdx=0 buffer=0 iui=0
_ds_load_b128 v[vgprValuA_X0_I0+4:vgprValuA_X0_I0+4+3], v[vgprLocalReadAddrA] offset:7424 // L -> Reg lro=1792 swapByteOffset=0 ti=16 vIdx=1 rIdx=0 oIdx=0 buffer=0 iui=0

/* local read b */
_ds_load_b128 v[vgprValuB_X0_I0+0:vgprValuB_X0_I0+0+3], v[vgprLocalReadAddrB] offset:7168 // L -> Reg lro=1792 swapByteOffset=0 ti=16 vIdx=0 rIdx=0 oIdx=0 buffer=0 iui=0
_ds_load_b128 v[vgprValuB_X0_I0+4:vgprValuB_X0_I0+4+3], v[vgprLocalReadAddrB] offset:7424 // L -> Reg lro=1792 swapByteOffset=0 ti=16 vIdx=1 rIdx=0 oIdx=0 buffer=0 iui=0

/* local read increment a */
/* N/A, lro->1920 */
/* self.localReadDoCntA 0 self.localReadDoCntB 0 */

/* local read increment b */
/* N/A, lro->1920 */
/* self.localReadDoCntA 0 self.localReadDoCntB 0 */
/* sched write - iter 13 writesPerItem=1 */
s_waitcnt vmcnt(0)                                 // lgkmcnt=-1 vmcnt=0wait for global read before writing to local
_ds_store_b128 v[vgprLocalWriteAddrB], v[vgprG2LB+0:vgprG2LB+0+3] offset:16384 // lwoB_0_0_0_0 = (0*LSCB) + (0*LSPB)(*MT1J+PAD) = 16384
s_waitcnt lgkmcnt(5)                               // lgkmcnt=0 vmcnt=-1wait for prior local read local write old=0, new=5 newLW=0 newLR=0
MAC_8x8_X1

/* iter 14 (reset local read pointers iteration)  (swap and reset local write pointers iteration)  (swap local read pointers iteration)  */


/* local read a */
_ds_load_b128 v[vgprValuA_X1_I0+0:vgprValuA_X1_I0+0+3], v[vgprLocalReadAddrA] offset:7680 // L -> Reg lro=1920 swapByteOffset=0 ti=16 vIdx=0 rIdx=0 oIdx=0 buffer=1 iui=0
_ds_load_b128 v[vgprValuA_X1_I0+4:vgprValuA_X1_I0+4+3], v[vgprLocalReadAddrA] offset:7936 // L -> Reg lro=1920 swapByteOffset=0 ti=16 vIdx=1 rIdx=0 oIdx=0 buffer=1 iui=0

/* local read b */
_ds_load_b128 v[vgprValuB_X1_I0+0:vgprValuB_X1_I0+0+3], v[vgprLocalReadAddrB] offset:7680 // L -> Reg lro=1920 swapByteOffset=0 ti=16 vIdx=0 rIdx=0 oIdx=0 buffer=1 iui=0
_ds_load_b128 v[vgprValuB_X1_I0+4:vgprValuB_X1_I0+4+3], v[vgprLocalReadAddrB] offset:7936 // L -> Reg lro=1920 swapByteOffset=0 ti=16 vIdx=1 rIdx=0 oIdx=0 buffer=1 iui=0
/* sched write - iter 14 writesPerItem=1 */
s_waitcnt vmcnt(0)                                 // lgkmcnt=-1 vmcnt=0wait for global read before writing to local
_ds_store_b128 v[vgprLocalWriteAddrB], v[vgprG2LB+4:vgprG2LB+4+3] offset:20480 // lwoB_0_0_1_0 = (0*LSCB) + (1*LSPB)(*MT1J+PAD) = 20480

/* local write swap offsets a */

/* (EPS=1) local write swap internal offset -> 0 */

/* local write swap offsets b */

/* (EPS=1) local write swap internal offset -> 0 */

/* local read swap offsets a */

/* local read swap internal offset -> 16384 */

/* local read swap offsets b */

/* local read swap internal offset -> 16384 */

/* local read init pointers a */

/* localReadInitPointers */

/* local read init pointers b */

/* localReadInitPointers */
s_waitcnt lgkmcnt(5)                               // lgkmcnt=0 vmcnt=-1wait for prior local read local write old=0, new=5 newLW=0 newLR=0
MAC_8x8_X0

/* iter 15 */

s_waitcnt lgkmcnt(0)                               // lgkmcnt=0 vmcnt=-13wait for local write
s_waitcnt lgkmcnt(0) & vmcnt(0)                    // force waitcnt0
s_barrier //

/* local read a */
_ds_load_b128 v[vgprValuA_X0_I0+0:vgprValuA_X0_I0+0+3], v[vgprLocalReadAddrA] offset:16384 // L -> Reg lro=0 swapByteOffset=16384 ti=16 vIdx=0 rIdx=0 oIdx=0 buffer=0 iui=0
_ds_load_b128 v[vgprValuA_X0_I0+4:vgprValuA_X0_I0+4+3], v[vgprLocalReadAddrA] offset:16640 // L -> Reg lro=0 swapByteOffset=16384 ti=16 vIdx=1 rIdx=0 oIdx=0 buffer=0 iui=0

/* local read b */
_ds_load_b128 v[vgprValuB_X0_I0+0:vgprValuB_X0_I0+0+3], v[vgprLocalReadAddrB] offset:16384 // L -> Reg lro=0 swapByteOffset=16384 ti=16 vIdx=0 rIdx=0 oIdx=0 buffer=0 iui=0
_ds_load_b128 v[vgprValuB_X0_I0+4:vgprValuB_X0_I0+4+3], v[vgprLocalReadAddrB] offset:16640 // L -> Reg lro=0 swapByteOffset=16384 ti=16 vIdx=1 rIdx=0 oIdx=0 buffer=0 iui=0

/* local read increment a */
/* N/A, lro->128 */
/* self.localReadDoCntA 0 self.localReadDoCntB 0 */

/* local read increment b */
/* N/A, lro->128 */
/* self.localReadDoCntA 0 self.localReadDoCntB 0 */
s_waitcnt lgkmcnt(4)                               // lgkmcnt=0 vmcnt=-1wait for prior local read local write old=0, new=4 newLW=0 newLR=0
MAC_8x8_X1

/******************************************/
/* Unrolled Loop - End 1/2                */
/******************************************/


/* closeLoop loopL finalLoop=0 tailLoop=0 */
s_sub_u32 s[sgprLoopCounterL], s[sgprLoopCounterL], 1 // dec counterL
s_cmp_eq_i32 s[sgprLoopCounterL], 0x1              // counterL==1
s_cbranch_scc1 LoopEndL_oddexit_3                  // exit LoopL


/******************************************/
/* Unrolled Loop 2/2 - Begin              */
/******************************************/

label_0014: // LoopCopy2 


/* Begin Each Unroll: Check VGPR.checkin for INT8 LW */


	;; [unrolled: 1-line block ×3, first 2 shown]
/* iter 0 */


/* local read a */
_ds_load_b128 v[vgprValuA_X1_I0+0:vgprValuA_X1_I0+0+3], v[vgprLocalReadAddrA] offset:16896 // L -> Reg lro=128 swapByteOffset=16384 ti=16 vIdx=0 rIdx=0 oIdx=0 buffer=1 iui=0
_ds_load_b128 v[vgprValuA_X1_I0+4:vgprValuA_X1_I0+4+3], v[vgprLocalReadAddrA] offset:17152 // L -> Reg lro=128 swapByteOffset=16384 ti=16 vIdx=1 rIdx=0 oIdx=0 buffer=1 iui=0
_buffer_load_b128 v[vgprG2LA+0:vgprG2LA+0+3], v[vgprGlobalReadOffsetA+0], s[sgprSrdA:sgprSrdA+3], 0, offen offset:0 // G -> Reg 0_0_0_0

/* local read b */
_ds_load_b128 v[vgprValuB_X1_I0+0:vgprValuB_X1_I0+0+3], v[vgprLocalReadAddrB] offset:16896 // L -> Reg lro=128 swapByteOffset=16384 ti=16 vIdx=0 rIdx=0 oIdx=0 buffer=1 iui=0
_ds_load_b128 v[vgprValuB_X1_I0+4:vgprValuB_X1_I0+4+3], v[vgprLocalReadAddrB] offset:17152 // L -> Reg lro=128 swapByteOffset=16384 ti=16 vIdx=1 rIdx=0 oIdx=0 buffer=1 iui=0

/* local read increment a */
/* N/A, lro->256 */
/* self.localReadDoCntA 0 self.localReadDoCntB 0 */

/* local read increment b */
/* N/A, lro->256 */
/* self.localReadDoCntA 0 self.localReadDoCntB 0 */
s_waitcnt lgkmcnt(4)                               // lgkmcnt=0 vmcnt=-1wait for prior local read local write old=0, new=4 newLW=0 newLR=0
MAC_8x8_X0

/* iter 1 */


/* local read a */
_ds_load_b128 v[vgprValuA_X0_I0+0:vgprValuA_X0_I0+0+3], v[vgprLocalReadAddrA] offset:17408 // L -> Reg lro=256 swapByteOffset=16384 ti=16 vIdx=0 rIdx=0 oIdx=0 buffer=0 iui=0
_ds_load_b128 v[vgprValuA_X0_I0+4:vgprValuA_X0_I0+4+3], v[vgprLocalReadAddrA] offset:17664 // L -> Reg lro=256 swapByteOffset=16384 ti=16 vIdx=1 rIdx=0 oIdx=0 buffer=0 iui=0
_buffer_load_b128 v[vgprG2LA+4:vgprG2LA+4+3], v[vgprGlobalReadOffsetA+1], s[sgprSrdA:sgprSrdA+3], 0, offen offset:0 // G -> Reg 0_0_1_0

/* local read b */
_ds_load_b128 v[vgprValuB_X0_I0+0:vgprValuB_X0_I0+0+3], v[vgprLocalReadAddrB] offset:17408 // L -> Reg lro=256 swapByteOffset=16384 ti=16 vIdx=0 rIdx=0 oIdx=0 buffer=0 iui=0
_ds_load_b128 v[vgprValuB_X0_I0+4:vgprValuB_X0_I0+4+3], v[vgprLocalReadAddrB] offset:17664 // L -> Reg lro=256 swapByteOffset=16384 ti=16 vIdx=1 rIdx=0 oIdx=0 buffer=0 iui=0

/* local read increment a */
/* N/A, lro->384 */
/* self.localReadDoCntA 0 self.localReadDoCntB 0 */

/* local read increment b */
/* N/A, lro->384 */
/* self.localReadDoCntA 0 self.localReadDoCntB 0 */
s_waitcnt lgkmcnt(4)                               // lgkmcnt=0 vmcnt=-1wait for prior local read local write old=0, new=4 newLW=0 newLR=0
MAC_8x8_X1

/* iter 2 */


/* local read a */
_ds_load_b128 v[vgprValuA_X1_I0+0:vgprValuA_X1_I0+0+3], v[vgprLocalReadAddrA] offset:17920 // L -> Reg lro=384 swapByteOffset=16384 ti=16 vIdx=0 rIdx=0 oIdx=0 buffer=1 iui=0
_ds_load_b128 v[vgprValuA_X1_I0+4:vgprValuA_X1_I0+4+3], v[vgprLocalReadAddrA] offset:18176 // L -> Reg lro=384 swapByteOffset=16384 ti=16 vIdx=1 rIdx=0 oIdx=0 buffer=1 iui=0
_buffer_load_b128 v[vgprG2LB+0:vgprG2LB+0+3], v[vgprGlobalReadOffsetB+0], s[sgprSrdB:sgprSrdB+3], 0, offen offset:0 // G -> Reg 0_0_0_0

/* local read b */
_ds_load_b128 v[vgprValuB_X1_I0+0:vgprValuB_X1_I0+0+3], v[vgprLocalReadAddrB] offset:17920 // L -> Reg lro=384 swapByteOffset=16384 ti=16 vIdx=0 rIdx=0 oIdx=0 buffer=1 iui=0
_ds_load_b128 v[vgprValuB_X1_I0+4:vgprValuB_X1_I0+4+3], v[vgprLocalReadAddrB] offset:18176 // L -> Reg lro=384 swapByteOffset=16384 ti=16 vIdx=1 rIdx=0 oIdx=0 buffer=1 iui=0

/* local read increment a */
/* N/A, lro->512 */
/* self.localReadDoCntA 0 self.localReadDoCntB 0 */

/* local read increment b */
/* N/A, lro->512 */
/* self.localReadDoCntA 0 self.localReadDoCntB 0 */
s_waitcnt lgkmcnt(4)                               // lgkmcnt=0 vmcnt=-1wait for prior local read local write old=0, new=4 newLW=0 newLR=0
MAC_8x8_X0

/* iter 3 */


/* local read a */
_ds_load_b128 v[vgprValuA_X0_I0+0:vgprValuA_X0_I0+0+3], v[vgprLocalReadAddrA] offset:18432 // L -> Reg lro=512 swapByteOffset=16384 ti=16 vIdx=0 rIdx=0 oIdx=0 buffer=0 iui=0
_ds_load_b128 v[vgprValuA_X0_I0+4:vgprValuA_X0_I0+4+3], v[vgprLocalReadAddrA] offset:18688 // L -> Reg lro=512 swapByteOffset=16384 ti=16 vIdx=1 rIdx=0 oIdx=0 buffer=0 iui=0
_buffer_load_b128 v[vgprG2LB+4:vgprG2LB+4+3], v[vgprGlobalReadOffsetB+1], s[sgprSrdB:sgprSrdB+3], 0, offen offset:0 // G -> Reg 0_0_1_0

/* local read b */
_ds_load_b128 v[vgprValuB_X0_I0+0:vgprValuB_X0_I0+0+3], v[vgprLocalReadAddrB] offset:18432 // L -> Reg lro=512 swapByteOffset=16384 ti=16 vIdx=0 rIdx=0 oIdx=0 buffer=0 iui=0
_ds_load_b128 v[vgprValuB_X0_I0+4:vgprValuB_X0_I0+4+3], v[vgprLocalReadAddrB] offset:18688 // L -> Reg lro=512 swapByteOffset=16384 ti=16 vIdx=1 rIdx=0 oIdx=0 buffer=0 iui=0

/* local read increment a */
/* N/A, lro->640 */
/* self.localReadDoCntA 0 self.localReadDoCntB 0 */

/* local read increment b */
/* N/A, lro->640 */
/* self.localReadDoCntA 0 self.localReadDoCntB 0 */
s_waitcnt lgkmcnt(4)                               // lgkmcnt=0 vmcnt=-1wait for prior local read local write old=0, new=4 newLW=0 newLR=0
MAC_8x8_X1

/* iter 4 */


/* local read a */
_ds_load_b128 v[vgprValuA_X1_I0+0:vgprValuA_X1_I0+0+3], v[vgprLocalReadAddrA] offset:18944 // L -> Reg lro=640 swapByteOffset=16384 ti=16 vIdx=0 rIdx=0 oIdx=0 buffer=1 iui=0
_ds_load_b128 v[vgprValuA_X1_I0+4:vgprValuA_X1_I0+4+3], v[vgprLocalReadAddrA] offset:19200 // L -> Reg lro=640 swapByteOffset=16384 ti=16 vIdx=1 rIdx=0 oIdx=0 buffer=1 iui=0

/* global read inc A loopL */
s_cmp_eq_u32 s[sgprLoopCounterL], s[sgprStaggerUIter] // Is this the wrapIter?
s_cselect_b32 s58, s[sgprWrapUA+0], s[sgprGlobalReadIncsA+0] // incLower <- ?
s_cselect_b32 s59, s[sgprWrapUA+1], 0              // incUpper <- ?
s_add_u32 s[sgprSrdA+0], s[sgprSrdA+0], s58        // gra SRD += inc(lower)
s_addc_u32  s[sgprSrdA+1], s[sgprSrdA+1], s59      // gra SRD += inc(upper)
s_sub_u32 s[sgprShadowLimitA+0], s[sgprShadowLimitA+0], s58 // limit -= inc)
s_subb_u32 s[sgprShadowLimitA+1], s[sgprShadowLimitA+1], s59 // limit -= inc)
s_cmp_eq_u32 s[sgprShadowLimitA+1], 0              // are we within 2^32?
s_cselect_b32 s[sgprSrdA+2], s[sgprShadowLimitA+0], BufferLimitA // Move shadow to real if we are within 2^32

/* local read b */
_ds_load_b128 v[vgprValuB_X1_I0+0:vgprValuB_X1_I0+0+3], v[vgprLocalReadAddrB] offset:18944 // L -> Reg lro=640 swapByteOffset=16384 ti=16 vIdx=0 rIdx=0 oIdx=0 buffer=1 iui=0
_ds_load_b128 v[vgprValuB_X1_I0+4:vgprValuB_X1_I0+4+3], v[vgprLocalReadAddrB] offset:19200 // L -> Reg lro=640 swapByteOffset=16384 ti=16 vIdx=1 rIdx=0 oIdx=0 buffer=1 iui=0

/* local read increment a */
/* N/A, lro->768 */
/* self.localReadDoCntA 0 self.localReadDoCntB 0 */

/* local read increment b */
/* N/A, lro->768 */
/* self.localReadDoCntA 0 self.localReadDoCntB 0 */
s_waitcnt lgkmcnt(4)                               // lgkmcnt=0 vmcnt=-1wait for prior local read local write old=0, new=4 newLW=0 newLR=0
MAC_8x8_X0

/* iter 5 */


/* local read a */
_ds_load_b128 v[vgprValuA_X0_I0+0:vgprValuA_X0_I0+0+3], v[vgprLocalReadAddrA] offset:19456 // L -> Reg lro=768 swapByteOffset=16384 ti=16 vIdx=0 rIdx=0 oIdx=0 buffer=0 iui=0
_ds_load_b128 v[vgprValuA_X0_I0+4:vgprValuA_X0_I0+4+3], v[vgprLocalReadAddrA] offset:19712 // L -> Reg lro=768 swapByteOffset=16384 ti=16 vIdx=1 rIdx=0 oIdx=0 buffer=0 iui=0

/* global read inc B loopL */
s_cmp_eq_u32 s[sgprLoopCounterL], s[sgprStaggerUIter] // Is this the wrapIter?
s_cselect_b32 s58, s[sgprWrapUB+0], s[sgprGlobalReadIncsB+0] // incLower <- ?
s_cselect_b32 s59, s[sgprWrapUB+1], 0              // incUpper <- ?
s_add_u32 s[sgprSrdB+0], s[sgprSrdB+0], s58        // gra SRD += inc(lower)
s_addc_u32  s[sgprSrdB+1], s[sgprSrdB+1], s59      // gra SRD += inc(upper)
s_sub_u32 s[sgprShadowLimitB+0], s[sgprShadowLimitB+0], s58 // limit -= inc)
s_subb_u32 s[sgprShadowLimitB+1], s[sgprShadowLimitB+1], s59 // limit -= inc)
s_cmp_eq_u32 s[sgprShadowLimitB+1], 0              // are we within 2^32?
s_cselect_b32 s[sgprSrdB+2], s[sgprShadowLimitB+0], BufferLimitB // Move shadow to real if we are within 2^32

/* local read b */
_ds_load_b128 v[vgprValuB_X0_I0+0:vgprValuB_X0_I0+0+3], v[vgprLocalReadAddrB] offset:19456 // L -> Reg lro=768 swapByteOffset=16384 ti=16 vIdx=0 rIdx=0 oIdx=0 buffer=0 iui=0
_ds_load_b128 v[vgprValuB_X0_I0+4:vgprValuB_X0_I0+4+3], v[vgprLocalReadAddrB] offset:19712 // L -> Reg lro=768 swapByteOffset=16384 ti=16 vIdx=1 rIdx=0 oIdx=0 buffer=0 iui=0

/* local read increment a */
/* N/A, lro->896 */
/* self.localReadDoCntA 0 self.localReadDoCntB 0 */

/* local read increment b */
/* N/A, lro->896 */
/* self.localReadDoCntA 0 self.localReadDoCntB 0 */
s_waitcnt lgkmcnt(4)                               // lgkmcnt=0 vmcnt=-1wait for prior local read local write old=0, new=4 newLW=0 newLR=0
MAC_8x8_X1

/* iter 6 */


/* local read a */
_ds_load_b128 v[vgprValuA_X1_I0+0:vgprValuA_X1_I0+0+3], v[vgprLocalReadAddrA] offset:19968 // L -> Reg lro=896 swapByteOffset=16384 ti=16 vIdx=0 rIdx=0 oIdx=0 buffer=1 iui=0
_ds_load_b128 v[vgprValuA_X1_I0+4:vgprValuA_X1_I0+4+3], v[vgprLocalReadAddrA] offset:20224 // L -> Reg lro=896 swapByteOffset=16384 ti=16 vIdx=1 rIdx=0 oIdx=0 buffer=1 iui=0

/* local read b */
_ds_load_b128 v[vgprValuB_X1_I0+0:vgprValuB_X1_I0+0+3], v[vgprLocalReadAddrB] offset:19968 // L -> Reg lro=896 swapByteOffset=16384 ti=16 vIdx=0 rIdx=0 oIdx=0 buffer=1 iui=0
_ds_load_b128 v[vgprValuB_X1_I0+4:vgprValuB_X1_I0+4+3], v[vgprLocalReadAddrB] offset:20224 // L -> Reg lro=896 swapByteOffset=16384 ti=16 vIdx=1 rIdx=0 oIdx=0 buffer=1 iui=0

/* local read increment a */
/* N/A, lro->1024 */
/* self.localReadDoCntA 0 self.localReadDoCntB 0 */

/* local read increment b */
/* N/A, lro->1024 */
/* self.localReadDoCntA 0 self.localReadDoCntB 0 */
s_waitcnt lgkmcnt(4)                               // lgkmcnt=0 vmcnt=-1wait for prior local read local write old=0, new=4 newLW=0 newLR=0
MAC_8x8_X0

/* iter 7 */


/* local read a */
_ds_load_b128 v[vgprValuA_X0_I0+0:vgprValuA_X0_I0+0+3], v[vgprLocalReadAddrA] offset:20480 // L -> Reg lro=1024 swapByteOffset=16384 ti=16 vIdx=0 rIdx=0 oIdx=0 buffer=0 iui=0
_ds_load_b128 v[vgprValuA_X0_I0+4:vgprValuA_X0_I0+4+3], v[vgprLocalReadAddrA] offset:20736 // L -> Reg lro=1024 swapByteOffset=16384 ti=16 vIdx=1 rIdx=0 oIdx=0 buffer=0 iui=0

/* local read b */
_ds_load_b128 v[vgprValuB_X0_I0+0:vgprValuB_X0_I0+0+3], v[vgprLocalReadAddrB] offset:20480 // L -> Reg lro=1024 swapByteOffset=16384 ti=16 vIdx=0 rIdx=0 oIdx=0 buffer=0 iui=0
_ds_load_b128 v[vgprValuB_X0_I0+4:vgprValuB_X0_I0+4+3], v[vgprLocalReadAddrB] offset:20736 // L -> Reg lro=1024 swapByteOffset=16384 ti=16 vIdx=1 rIdx=0 oIdx=0 buffer=0 iui=0

/* local read increment a */
/* N/A, lro->1152 */
/* self.localReadDoCntA 0 self.localReadDoCntB 0 */

/* local read increment b */
/* N/A, lro->1152 */
/* self.localReadDoCntA 0 self.localReadDoCntB 0 */
s_waitcnt lgkmcnt(4)                               // lgkmcnt=0 vmcnt=-1wait for prior local read local write old=0, new=4 newLW=0 newLR=0
MAC_8x8_X1

/* iter 8 */


/* local read a */
_ds_load_b128 v[vgprValuA_X1_I0+0:vgprValuA_X1_I0+0+3], v[vgprLocalReadAddrA] offset:20992 // L -> Reg lro=1152 swapByteOffset=16384 ti=16 vIdx=0 rIdx=0 oIdx=0 buffer=1 iui=0
_ds_load_b128 v[vgprValuA_X1_I0+4:vgprValuA_X1_I0+4+3], v[vgprLocalReadAddrA] offset:21248 // L -> Reg lro=1152 swapByteOffset=16384 ti=16 vIdx=1 rIdx=0 oIdx=0 buffer=1 iui=0

/* local read b */
_ds_load_b128 v[vgprValuB_X1_I0+0:vgprValuB_X1_I0+0+3], v[vgprLocalReadAddrB] offset:20992 // L -> Reg lro=1152 swapByteOffset=16384 ti=16 vIdx=0 rIdx=0 oIdx=0 buffer=1 iui=0
_ds_load_b128 v[vgprValuB_X1_I0+4:vgprValuB_X1_I0+4+3], v[vgprLocalReadAddrB] offset:21248 // L -> Reg lro=1152 swapByteOffset=16384 ti=16 vIdx=1 rIdx=0 oIdx=0 buffer=1 iui=0

/* local read increment a */
/* N/A, lro->1280 */
/* self.localReadDoCntA 0 self.localReadDoCntB 0 */

/* local read increment b */
/* N/A, lro->1280 */
/* self.localReadDoCntA 0 self.localReadDoCntB 0 */
s_waitcnt lgkmcnt(4)                               // lgkmcnt=0 vmcnt=-1wait for prior local read local write old=0, new=4 newLW=0 newLR=0
MAC_8x8_X0

/* iter 9 */


/* local read a */
_ds_load_b128 v[vgprValuA_X0_I0+0:vgprValuA_X0_I0+0+3], v[vgprLocalReadAddrA] offset:21504 // L -> Reg lro=1280 swapByteOffset=16384 ti=16 vIdx=0 rIdx=0 oIdx=0 buffer=0 iui=0
_ds_load_b128 v[vgprValuA_X0_I0+4:vgprValuA_X0_I0+4+3], v[vgprLocalReadAddrA] offset:21760 // L -> Reg lro=1280 swapByteOffset=16384 ti=16 vIdx=1 rIdx=0 oIdx=0 buffer=0 iui=0
	;; [unrolled: 42-line block ×3, first 2 shown]

/* local read b */
_ds_load_b128 v[vgprValuB_X0_I0+0:vgprValuB_X0_I0+0+3], v[vgprLocalReadAddrB] offset:22528 // L -> Reg lro=1536 swapByteOffset=16384 ti=16 vIdx=0 rIdx=0 oIdx=0 buffer=0 iui=0
_ds_load_b128 v[vgprValuB_X0_I0+4:vgprValuB_X0_I0+4+3], v[vgprLocalReadAddrB] offset:22784 // L -> Reg lro=1536 swapByteOffset=16384 ti=16 vIdx=1 rIdx=0 oIdx=0 buffer=0 iui=0

/* local read increment a */
/* N/A, lro->1664 */
/* self.localReadDoCntA 0 self.localReadDoCntB 0 */

/* local read increment b */
/* N/A, lro->1664 */
/* self.localReadDoCntA 0 self.localReadDoCntB 0 */
/* sched write - iter 11 writesPerItem=4 */
s_waitcnt vmcnt(0)                                 // lgkmcnt=-1 vmcnt=0wait for global read before writing to local
_ds_store_b32 v[vgprLocalWriteAddrA], v[vgprG2LA+0] offset:0 // lwoA_0_0_0_0 = (0 + 0*LSCA)*(MT0I+PAD) + (0*LSPA) = 0
_ds_store_b32 v[vgprLocalWriteAddrA], v[vgprG2LA+1] offset:512 // lwoA_0_1_0_0 = (1 + 0*LSCA)*(MT0I+PAD) + (0*LSPA) = 512
_ds_store_b32 v[vgprLocalWriteAddrA], v[vgprG2LA+2] offset:1024 // lwoA_0_2_0_0 = (2 + 0*LSCA)*(MT0I+PAD) + (0*LSPA) = 1024
_ds_store_b32 v[vgprLocalWriteAddrA], v[vgprG2LA+3] offset:1536 // lwoA_0_3_0_0 = (3 + 0*LSCA)*(MT0I+PAD) + (0*LSPA) = 1536
s_waitcnt lgkmcnt(8)                               // lgkmcnt=0 vmcnt=-1wait for prior local read local write old=0, new=8 newLW=0 newLR=0
MAC_8x8_X1

/* iter 12 */


/* local read a */
_ds_load_b128 v[vgprValuA_X1_I0+0:vgprValuA_X1_I0+0+3], v[vgprLocalReadAddrA] offset:23040 // L -> Reg lro=1664 swapByteOffset=16384 ti=16 vIdx=0 rIdx=0 oIdx=0 buffer=1 iui=0
_ds_load_b128 v[vgprValuA_X1_I0+4:vgprValuA_X1_I0+4+3], v[vgprLocalReadAddrA] offset:23296 // L -> Reg lro=1664 swapByteOffset=16384 ti=16 vIdx=1 rIdx=0 oIdx=0 buffer=1 iui=0

/* local read b */
_ds_load_b128 v[vgprValuB_X1_I0+0:vgprValuB_X1_I0+0+3], v[vgprLocalReadAddrB] offset:23040 // L -> Reg lro=1664 swapByteOffset=16384 ti=16 vIdx=0 rIdx=0 oIdx=0 buffer=1 iui=0
_ds_load_b128 v[vgprValuB_X1_I0+4:vgprValuB_X1_I0+4+3], v[vgprLocalReadAddrB] offset:23296 // L -> Reg lro=1664 swapByteOffset=16384 ti=16 vIdx=1 rIdx=0 oIdx=0 buffer=1 iui=0

/* local read increment a */
/* N/A, lro->1792 */
/* self.localReadDoCntA 0 self.localReadDoCntB 0 */

/* local read increment b */
/* N/A, lro->1792 */
/* self.localReadDoCntA 0 self.localReadDoCntB 0 */
/* sched write - iter 12 writesPerItem=4 */
s_waitcnt vmcnt(0)                                 // lgkmcnt=-1 vmcnt=0wait for global read before writing to local
_ds_store_b32 v[vgprLocalWriteAddrA], v[vgprG2LA+4] offset:256 // lwoA_0_0_1_0 = (0 + 0*LSCA)*(MT0I+PAD) + (1*LSPA) = 256
_ds_store_b32 v[vgprLocalWriteAddrA], v[vgprG2LA+5] offset:768 // lwoA_0_1_1_0 = (1 + 0*LSCA)*(MT0I+PAD) + (1*LSPA) = 768
_ds_store_b32 v[vgprLocalWriteAddrA], v[vgprG2LA+6] offset:1280 // lwoA_0_2_1_0 = (2 + 0*LSCA)*(MT0I+PAD) + (1*LSPA) = 1280
_ds_store_b32 v[vgprLocalWriteAddrA], v[vgprG2LA+7] offset:1792 // lwoA_0_3_1_0 = (3 + 0*LSCA)*(MT0I+PAD) + (1*LSPA) = 1792
s_waitcnt lgkmcnt(8)                               // lgkmcnt=0 vmcnt=-1wait for prior local read local write old=0, new=8 newLW=0 newLR=0
MAC_8x8_X0

/* iter 13 */


/* local read a */
_ds_load_b128 v[vgprValuA_X0_I0+0:vgprValuA_X0_I0+0+3], v[vgprLocalReadAddrA] offset:23552 // L -> Reg lro=1792 swapByteOffset=16384 ti=16 vIdx=0 rIdx=0 oIdx=0 buffer=0 iui=0
_ds_load_b128 v[vgprValuA_X0_I0+4:vgprValuA_X0_I0+4+3], v[vgprLocalReadAddrA] offset:23808 // L -> Reg lro=1792 swapByteOffset=16384 ti=16 vIdx=1 rIdx=0 oIdx=0 buffer=0 iui=0

/* local read b */
_ds_load_b128 v[vgprValuB_X0_I0+0:vgprValuB_X0_I0+0+3], v[vgprLocalReadAddrB] offset:23552 // L -> Reg lro=1792 swapByteOffset=16384 ti=16 vIdx=0 rIdx=0 oIdx=0 buffer=0 iui=0
_ds_load_b128 v[vgprValuB_X0_I0+4:vgprValuB_X0_I0+4+3], v[vgprLocalReadAddrB] offset:23808 // L -> Reg lro=1792 swapByteOffset=16384 ti=16 vIdx=1 rIdx=0 oIdx=0 buffer=0 iui=0

/* local read increment a */
/* N/A, lro->1920 */
/* self.localReadDoCntA 0 self.localReadDoCntB 0 */

/* local read increment b */
/* N/A, lro->1920 */
/* self.localReadDoCntA 0 self.localReadDoCntB 0 */
/* sched write - iter 13 writesPerItem=1 */
s_waitcnt vmcnt(0)                                 // lgkmcnt=-1 vmcnt=0wait for global read before writing to local
_ds_store_b128 v[vgprLocalWriteAddrB], v[vgprG2LB+0:vgprG2LB+0+3] offset:0 // lwoB_0_0_0_0 = (0*LSCB) + (0*LSPB)(*MT1J+PAD) = 0
s_waitcnt lgkmcnt(5)                               // lgkmcnt=0 vmcnt=-1wait for prior local read local write old=0, new=5 newLW=0 newLR=0
MAC_8x8_X1

/* iter 14 (reset local read pointers iteration)  (swap and reset local write pointers iteration)  (swap local read pointers iteration)  */


/* local read a */
_ds_load_b128 v[vgprValuA_X1_I0+0:vgprValuA_X1_I0+0+3], v[vgprLocalReadAddrA] offset:24064 // L -> Reg lro=1920 swapByteOffset=16384 ti=16 vIdx=0 rIdx=0 oIdx=0 buffer=1 iui=0
_ds_load_b128 v[vgprValuA_X1_I0+4:vgprValuA_X1_I0+4+3], v[vgprLocalReadAddrA] offset:24320 // L -> Reg lro=1920 swapByteOffset=16384 ti=16 vIdx=1 rIdx=0 oIdx=0 buffer=1 iui=0

/* local read b */
_ds_load_b128 v[vgprValuB_X1_I0+0:vgprValuB_X1_I0+0+3], v[vgprLocalReadAddrB] offset:24064 // L -> Reg lro=1920 swapByteOffset=16384 ti=16 vIdx=0 rIdx=0 oIdx=0 buffer=1 iui=0
_ds_load_b128 v[vgprValuB_X1_I0+4:vgprValuB_X1_I0+4+3], v[vgprLocalReadAddrB] offset:24320 // L -> Reg lro=1920 swapByteOffset=16384 ti=16 vIdx=1 rIdx=0 oIdx=0 buffer=1 iui=0
/* sched write - iter 14 writesPerItem=1 */
s_waitcnt vmcnt(0)                                 // lgkmcnt=-1 vmcnt=0wait for global read before writing to local
_ds_store_b128 v[vgprLocalWriteAddrB], v[vgprG2LB+4:vgprG2LB+4+3] offset:4096 // lwoB_0_0_1_0 = (0*LSCB) + (1*LSPB)(*MT1J+PAD) = 4096

/* local write swap offsets a */

/* (EPS=1) local write swap internal offset -> 16384 */

/* local write swap offsets b */

/* (EPS=1) local write swap internal offset -> 16384 */

/* local read swap offsets a */

/* local read swap internal offset -> 0 */

/* local read swap offsets b */

/* local read swap internal offset -> 0 */

/* local read init pointers a */

/* localReadInitPointers */

/* local read init pointers b */

/* localReadInitPointers */
s_waitcnt lgkmcnt(5)                               // lgkmcnt=0 vmcnt=-1wait for prior local read local write old=0, new=5 newLW=0 newLR=0
MAC_8x8_X0

/* iter 15 */

s_waitcnt lgkmcnt(0)                               // lgkmcnt=0 vmcnt=-13wait for local write
s_waitcnt lgkmcnt(0) & vmcnt(0)                    // force waitcnt0
s_barrier //

/* local read a */
_ds_load_b128 v[vgprValuA_X0_I0+0:vgprValuA_X0_I0+0+3], v[vgprLocalReadAddrA] offset:0 // L -> Reg lro=0 swapByteOffset=0 ti=16 vIdx=0 rIdx=0 oIdx=0 buffer=0 iui=0
_ds_load_b128 v[vgprValuA_X0_I0+4:vgprValuA_X0_I0+4+3], v[vgprLocalReadAddrA] offset:256 // L -> Reg lro=0 swapByteOffset=0 ti=16 vIdx=1 rIdx=0 oIdx=0 buffer=0 iui=0

/* local read b */
_ds_load_b128 v[vgprValuB_X0_I0+0:vgprValuB_X0_I0+0+3], v[vgprLocalReadAddrB] offset:0 // L -> Reg lro=0 swapByteOffset=0 ti=16 vIdx=0 rIdx=0 oIdx=0 buffer=0 iui=0
_ds_load_b128 v[vgprValuB_X0_I0+4:vgprValuB_X0_I0+4+3], v[vgprLocalReadAddrB] offset:256 // L -> Reg lro=0 swapByteOffset=0 ti=16 vIdx=1 rIdx=0 oIdx=0 buffer=0 iui=0

/* local read increment a */
/* N/A, lro->128 */
/* self.localReadDoCntA 0 self.localReadDoCntB 0 */

/* local read increment b */
/* N/A, lro->128 */
/* self.localReadDoCntA 0 self.localReadDoCntB 0 */
s_waitcnt lgkmcnt(4)                               // lgkmcnt=0 vmcnt=-1wait for prior local read local write old=0, new=4 newLW=0 newLR=0
MAC_8x8_X1

/******************************************/
/* Unrolled Loop - End 2/2 (final)        */
/******************************************/


/* closeLoop loopL finalLoop=1 tailLoop=0 */
s_sub_u32 s[sgprLoopCounterL], s[sgprLoopCounterL], 1 // dec counterL
s_cmp_eq_i32 s[sgprLoopCounterL], 0x1              // counterL==1
s_cbranch_scc0 LoopBeginL_1                        // restart LoopL
LoopEndL_evenexit_4: // unroll loop eveniter exit
s_branch LoopEndL_2                                // exit unroll loopL (and skip second exit code)
LoopEndL_oddexit_3: // unroll loop odditer exit

/* Select high bank of LDS */
v_xor_b32 v[vgprLocalReadAddrA], 0x4000, v[vgprLocalReadAddrA] // swap Red Blk
v_xor_b32 v[vgprLocalReadAddrB], 0x4000, v[vgprLocalReadAddrB] // swap Red Blk
LoopEndL_2:


/* Before NLL: Check VGPR.checkin for INT8 LW */


/******************************************/
/* Ord. NoLoadLoop - Begin                                      */
/******************************************/


	;; [unrolled: 1-line block ×4, first 2 shown]
/* iter 0 (last unrolled loop) */


/* local read a */
_ds_load_b128 v[vgprValuA_X1_I0+0:vgprValuA_X1_I0+0+3], v[vgprLocalReadAddrA] offset:512 // L -> Reg lro=128 swapByteOffset=0 ti=16 vIdx=0 rIdx=0 oIdx=0 buffer=1 iui=0
_ds_load_b128 v[vgprValuA_X1_I0+4:vgprValuA_X1_I0+4+3], v[vgprLocalReadAddrA] offset:768 // L -> Reg lro=128 swapByteOffset=0 ti=16 vIdx=1 rIdx=0 oIdx=0 buffer=1 iui=0

/* local read b */
_ds_load_b128 v[vgprValuB_X1_I0+0:vgprValuB_X1_I0+0+3], v[vgprLocalReadAddrB] offset:512 // L -> Reg lro=128 swapByteOffset=0 ti=16 vIdx=0 rIdx=0 oIdx=0 buffer=1 iui=0
_ds_load_b128 v[vgprValuB_X1_I0+4:vgprValuB_X1_I0+4+3], v[vgprLocalReadAddrB] offset:768 // L -> Reg lro=128 swapByteOffset=0 ti=16 vIdx=1 rIdx=0 oIdx=0 buffer=1 iui=0

/* local read increment a */
/* N/A, lro->256 */
/* self.localReadDoCntA 0 self.localReadDoCntB 0 */

/* local read increment b */
/* N/A, lro->256 */
/* self.localReadDoCntA 0 self.localReadDoCntB 0 */
s_waitcnt lgkmcnt(4)                               // lgkmcnt=0 vmcnt=-1wait for prior local read local write old=0, new=4 newLW=0 newLR=0
MAC_8x8_X0

/* iter 1 (last unrolled loop) */


/* local read a */
_ds_load_b128 v[vgprValuA_X0_I0+0:vgprValuA_X0_I0+0+3], v[vgprLocalReadAddrA] offset:1024 // L -> Reg lro=256 swapByteOffset=0 ti=16 vIdx=0 rIdx=0 oIdx=0 buffer=0 iui=0
_ds_load_b128 v[vgprValuA_X0_I0+4:vgprValuA_X0_I0+4+3], v[vgprLocalReadAddrA] offset:1280 // L -> Reg lro=256 swapByteOffset=0 ti=16 vIdx=1 rIdx=0 oIdx=0 buffer=0 iui=0

/* local read b */
_ds_load_b128 v[vgprValuB_X0_I0+0:vgprValuB_X0_I0+0+3], v[vgprLocalReadAddrB] offset:1024 // L -> Reg lro=256 swapByteOffset=0 ti=16 vIdx=0 rIdx=0 oIdx=0 buffer=0 iui=0
_ds_load_b128 v[vgprValuB_X0_I0+4:vgprValuB_X0_I0+4+3], v[vgprLocalReadAddrB] offset:1280 // L -> Reg lro=256 swapByteOffset=0 ti=16 vIdx=1 rIdx=0 oIdx=0 buffer=0 iui=0

/* local read increment a */
/* N/A, lro->384 */
/* self.localReadDoCntA 0 self.localReadDoCntB 0 */

/* local read increment b */
/* N/A, lro->384 */
/* self.localReadDoCntA 0 self.localReadDoCntB 0 */
s_waitcnt lgkmcnt(4)                               // lgkmcnt=0 vmcnt=-1wait for prior local read local write old=0, new=4 newLW=0 newLR=0
MAC_8x8_X1

/* iter 2 (last unrolled loop) */


/* local read a */
_ds_load_b128 v[vgprValuA_X1_I0+0:vgprValuA_X1_I0+0+3], v[vgprLocalReadAddrA] offset:1536 // L -> Reg lro=384 swapByteOffset=0 ti=16 vIdx=0 rIdx=0 oIdx=0 buffer=1 iui=0
_ds_load_b128 v[vgprValuA_X1_I0+4:vgprValuA_X1_I0+4+3], v[vgprLocalReadAddrA] offset:1792 // L -> Reg lro=384 swapByteOffset=0 ti=16 vIdx=1 rIdx=0 oIdx=0 buffer=1 iui=0

/* local read b */
_ds_load_b128 v[vgprValuB_X1_I0+0:vgprValuB_X1_I0+0+3], v[vgprLocalReadAddrB] offset:1536 // L -> Reg lro=384 swapByteOffset=0 ti=16 vIdx=0 rIdx=0 oIdx=0 buffer=1 iui=0
_ds_load_b128 v[vgprValuB_X1_I0+4:vgprValuB_X1_I0+4+3], v[vgprLocalReadAddrB] offset:1792 // L -> Reg lro=384 swapByteOffset=0 ti=16 vIdx=1 rIdx=0 oIdx=0 buffer=1 iui=0

/* local read increment a */
/* N/A, lro->512 */
/* self.localReadDoCntA 0 self.localReadDoCntB 0 */

/* local read increment b */
/* N/A, lro->512 */
/* self.localReadDoCntA 0 self.localReadDoCntB 0 */
s_waitcnt lgkmcnt(4)                               // lgkmcnt=0 vmcnt=-1wait for prior local read local write old=0, new=4 newLW=0 newLR=0
MAC_8x8_X0

/* iter 3 (last unrolled loop) */


/* local read a */
_ds_load_b128 v[vgprValuA_X0_I0+0:vgprValuA_X0_I0+0+3], v[vgprLocalReadAddrA] offset:2048 // L -> Reg lro=512 swapByteOffset=0 ti=16 vIdx=0 rIdx=0 oIdx=0 buffer=0 iui=0
_ds_load_b128 v[vgprValuA_X0_I0+4:vgprValuA_X0_I0+4+3], v[vgprLocalReadAddrA] offset:2304 // L -> Reg lro=512 swapByteOffset=0 ti=16 vIdx=1 rIdx=0 oIdx=0 buffer=0 iui=0

/* local read b */
_ds_load_b128 v[vgprValuB_X0_I0+0:vgprValuB_X0_I0+0+3], v[vgprLocalReadAddrB] offset:2048 // L -> Reg lro=512 swapByteOffset=0 ti=16 vIdx=0 rIdx=0 oIdx=0 buffer=0 iui=0
_ds_load_b128 v[vgprValuB_X0_I0+4:vgprValuB_X0_I0+4+3], v[vgprLocalReadAddrB] offset:2304 // L -> Reg lro=512 swapByteOffset=0 ti=16 vIdx=1 rIdx=0 oIdx=0 buffer=0 iui=0

/* local read increment a */
/* N/A, lro->640 */
/* self.localReadDoCntA 0 self.localReadDoCntB 0 */

/* local read increment b */
/* N/A, lro->640 */
/* self.localReadDoCntA 0 self.localReadDoCntB 0 */
s_waitcnt lgkmcnt(4)                               // lgkmcnt=0 vmcnt=-1wait for prior local read local write old=0, new=4 newLW=0 newLR=0
MAC_8x8_X1

	;; [unrolled: 42-line block ×7, first 2 shown]
/* iter 14 (last unrolled loop) */


/* local read a */
_ds_load_b128 v[vgprValuA_X1_I0+0:vgprValuA_X1_I0+0+3], v[vgprLocalReadAddrA] offset:7680 // L -> Reg lro=1920 swapByteOffset=0 ti=16 vIdx=0 rIdx=0 oIdx=0 buffer=1 iui=0
_ds_load_b128 v[vgprValuA_X1_I0+4:vgprValuA_X1_I0+4+3], v[vgprLocalReadAddrA] offset:7936 // L -> Reg lro=1920 swapByteOffset=0 ti=16 vIdx=1 rIdx=0 oIdx=0 buffer=1 iui=0

/* local read b */
_ds_load_b128 v[vgprValuB_X1_I0+0:vgprValuB_X1_I0+0+3], v[vgprLocalReadAddrB] offset:7680 // L -> Reg lro=1920 swapByteOffset=0 ti=16 vIdx=0 rIdx=0 oIdx=0 buffer=1 iui=0
_ds_load_b128 v[vgprValuB_X1_I0+4:vgprValuB_X1_I0+4+3], v[vgprLocalReadAddrB] offset:7936 // L -> Reg lro=1920 swapByteOffset=0 ti=16 vIdx=1 rIdx=0 oIdx=0 buffer=1 iui=0
s_waitcnt lgkmcnt(4)                               // lgkmcnt=0 vmcnt=-1wait for prior local read local write old=0, new=4 newLW=0 newLR=0
MAC_8x8_X0

/* iter 15 (last unrolled loop) */

s_waitcnt lgkmcnt(0)                               // lgkmcnt=0 vmcnt=-1wait for prior local read local write old=0, new=0 newLW=0 newLR=0
MAC_8x8_X1
PrefetchGlobalLastIterEnd_5:


/******************************************/
/* Tail Loop                              */
/******************************************/


/* local write reset offsets a */


v_and_b32 v[vgprLocalWriteAddrA], 0xf03fff, v[vgprLocalWriteAddrA] // reset to Red


/* local write reset offsets b */


v_and_b32 v[vgprLocalWriteAddrB], 0xf03fff, v[vgprLocalWriteAddrB] // reset to Red


//numIterL = (((sizeL % LOCAL_DEPTHU) + LOCAL_SPLITU - 1) / LOCAL_SPLITU)
s_and_b32 s[sgprLoopCounterL], 15, s[sgprSizesSum+0] // s[sgprLoopCounterL] = s[sgprSizesSum+0] % 16
s_cmp_lg_u32 s[sgprGSUSumIdx], s[sgprGSUSumIdx+1]  // gsuSumIdx == numIterPerWgRemainder
s_cmov_b32 s[sgprLoopCounterL], 0x0                // numIter=0 if gsuSumIdx!=remainder
s_cmp_eq_u32 s[sgprLoopCounterL], 0x0              // numIterL == 0
s_cbranch_scc1 SkipTailLoopL_8                     // skip to end of tail loop b/c numIter==0
s_mov_b32 s[sgprOrigLoopCounter], 0                // repurpose to count each localRead increment


/* remove stagger offsets for tail loop */

s_mov_b32 s60, 3                                   // 
s_mul_hi_u32 s59, s60, s[sgprGlobalReadIncsA+0]    // 3 * GlobalReadIncs
s_mul_i32 s58, s60, s[sgprGlobalReadIncsA+0]       // 3 * GlobalReadIncs
s_mul_hi_u32 s61, s[sgprStaggerUIter], s[sgprGlobalReadIncsA+0] // StaggerUIter * GlobalReadIncs
s_mul_i32 s60, s[sgprStaggerUIter], s[sgprGlobalReadIncsA+0] // StaggerUIter * GlobalReadIncs
s_sub_u32 s58, s58, s60                            // start offset S in bytes
s_subb_u32 s59, s59, s61                           // start offset S in bytes
s_sub_u32 s58, s58, s[sgprWrapUA]                  // S - WrapU
s_subb_u32 s59, s59, s[sgprWrapUA+1]               // S - WrapU
s_add_u32 s[sgprSrdA+0], s[sgprSrdA+0], s58        // gra SRD += inc(lower)
s_addc_u32  s[sgprSrdA+1], s[sgprSrdA+1], s59      // gra SRD += inc(upper)
s_sub_u32 s[sgprShadowLimitA+0], s[sgprShadowLimitA+0], s58 // limit -= inc)
s_subb_u32 s[sgprShadowLimitA+1], s[sgprShadowLimitA+1], s59 // limit -= inc)
s_cmp_eq_u32 s[sgprShadowLimitA+1], 0              // are we within 2^32?
s_cselect_b32 s[sgprSrdA+2], s[sgprShadowLimitA+0], BufferLimitA // Move shadow to real if we are within 2^32

s_mov_b32 s60, 3                                   // 
s_mul_hi_u32 s59, s60, s[sgprGlobalReadIncsB+0]    // 3 * GlobalReadIncs
s_mul_i32 s58, s60, s[sgprGlobalReadIncsB+0]       // 3 * GlobalReadIncs
s_mul_hi_u32 s61, s[sgprStaggerUIter], s[sgprGlobalReadIncsB+0] // StaggerUIter * GlobalReadIncs
s_mul_i32 s60, s[sgprStaggerUIter], s[sgprGlobalReadIncsB+0] // StaggerUIter * GlobalReadIncs
s_sub_u32 s58, s58, s60                            // start offset S in bytes
s_subb_u32 s59, s59, s61                           // start offset S in bytes
s_sub_u32 s58, s58, s[sgprWrapUB]                  // S - WrapU
s_subb_u32 s59, s59, s[sgprWrapUB+1]               // S - WrapU
s_add_u32 s[sgprSrdB+0], s[sgprSrdB+0], s58        // gra SRD += inc(lower)
s_addc_u32  s[sgprSrdB+1], s[sgprSrdB+1], s59      // gra SRD += inc(upper)
s_sub_u32 s[sgprShadowLimitB+0], s[sgprShadowLimitB+0], s58 // limit -= inc)
s_subb_u32 s[sgprShadowLimitB+1], s[sgprShadowLimitB+1], s59 // limit -= inc)
s_cmp_eq_u32 s[sgprShadowLimitB+1], 0              // are we within 2^32?
s_cselect_b32 s[sgprSrdB+2], s[sgprShadowLimitB+0], BufferLimitB // Move shadow to real if we are within 2^32


/* Update M0 for DTLDS */


	;; [unrolled: 1-line block ×3, first 2 shown]
/* global read a */

/* g2l=0, load component 0 */
_buffer_load_b32 v[vgprG2LA+0+0], v[vgprGlobalReadOffsetA+0], s[sgprSrdA:sgprSrdA+3], 0, offen offset:0 // load one buffer value
/* g2l=0, load component 1 */
_buffer_load_b32 v[vgprG2LA+0+1], v[vgprGlobalReadOffsetA+0], s[sgprSrdA:sgprSrdA+3], 0, offen offset:4 // load one buffer value
	;; [unrolled: 2-line block ×8, first 2 shown]


/* Update M0 for DTLDS */



/* global read b */

/* g2l=0, load component 0 */
_buffer_load_b32 v[vgprG2LB+0+0], v[vgprGlobalReadOffsetB+0], s[sgprSrdB:sgprSrdB+3], 0, offen offset:0 // load one buffer value
/* g2l=0, load component 1 */
_buffer_load_b32 v[vgprG2LB+0+1], v[vgprGlobalReadOffsetB+0], s[sgprSrdB:sgprSrdB+3], 0, offen offset:4 // load one buffer value
	;; [unrolled: 2-line block ×8, first 2 shown]

s_waitcnt vmcnt(0)                                 // lgkmcnt=-1 vmcnt=02wait for global read

s_waitcnt lgkmcnt(0) & vmcnt(0)                    // force waitcnt0
s_barrier //


/* Done global A/B reads */


	;; [unrolled: 1-line block ×4, first 2 shown]
/* local write a */

_ds_store_b32 v[vgprLocalWriteAddrA], v[vgprG2LA+0] offset:0 // lwoA_0_0_0_0 = (0 + 0*LSCA)*(MT0I+PAD) + (0*LSPA) = 0
_ds_store_b32 v[vgprLocalWriteAddrA], v[vgprG2LA+1] offset:512 // lwoA_0_1_0_0 = (1 + 0*LSCA)*(MT0I+PAD) + (0*LSPA) = 512
_ds_store_b32 v[vgprLocalWriteAddrA], v[vgprG2LA+2] offset:1024 // lwoA_0_2_0_0 = (2 + 0*LSCA)*(MT0I+PAD) + (0*LSPA) = 1024
_ds_store_b32 v[vgprLocalWriteAddrA], v[vgprG2LA+3] offset:1536 // lwoA_0_3_0_0 = (3 + 0*LSCA)*(MT0I+PAD) + (0*LSPA) = 1536
_ds_store_b32 v[vgprLocalWriteAddrA], v[vgprG2LA+4] offset:256 // lwoA_0_0_1_0 = (0 + 0*LSCA)*(MT0I+PAD) + (1*LSPA) = 256
_ds_store_b32 v[vgprLocalWriteAddrA], v[vgprG2LA+5] offset:768 // lwoA_0_1_1_0 = (1 + 0*LSCA)*(MT0I+PAD) + (1*LSPA) = 768
_ds_store_b32 v[vgprLocalWriteAddrA], v[vgprG2LA+6] offset:1280 // lwoA_0_2_1_0 = (2 + 0*LSCA)*(MT0I+PAD) + (1*LSPA) = 1280
_ds_store_b32 v[vgprLocalWriteAddrA], v[vgprG2LA+7] offset:1792 // lwoA_0_3_1_0 = (3 + 0*LSCA)*(MT0I+PAD) + (1*LSPA) = 1792


/* local write b */

_ds_store_b128 v[vgprLocalWriteAddrB], v[vgprG2LB+0:vgprG2LB+0+3] offset:0 // lwoB_0_0_0_0 = (0*LSCB) + (0*LSPB)(*MT1J+PAD) = 0
_ds_store_b128 v[vgprLocalWriteAddrB], v[vgprG2LB+4:vgprG2LB+4+3] offset:4096 // lwoB_0_0_1_0 = (0*LSCB) + (1*LSPB)(*MT1J+PAD) = 4096


/* Recalc local read offsets */


s_waitcnt lgkmcnt(0)                               // lgkmcnt=0 vmcnt=-15wait for local write

s_waitcnt lgkmcnt(0) & vmcnt(0)                    // force waitcnt0
s_barrier //


/* local read reset offsets a */


/* localReadResetOffsets */
/* handled internally */
v_and_b32 v[vgprLocalReadAddrA], 0x3fff, v[vgprLocalReadAddrA] // reset Red,Blk -> Red


/* local read reset offsets b */


/* localReadResetOffsets */
/* handled internally */
v_and_b32 v[vgprLocalReadAddrB], 0x3fff, v[vgprLocalReadAddrB] // reset Red,Blk -> Red


/* local read init pointers a */


/* localReadInitPointers */


/* local read init pointers b */


/* localReadInitPointers */


/* tail loop: macs */

TailLoopBeginL_6:


/* local read a */

_ds_load_b128 v[vgprValuA_X0_I0+0:vgprValuA_X0_I0+0+3], v[vgprLocalReadAddrA] offset:0 // L -> Reg lro=0 swapByteOffset=0 ti=16 vIdx=0 rIdx=0 oIdx=0 buffer=0 iui=0
_ds_load_b128 v[vgprValuA_X0_I0+4:vgprValuA_X0_I0+4+3], v[vgprLocalReadAddrA] offset:256 // L -> Reg lro=0 swapByteOffset=0 ti=16 vIdx=1 rIdx=0 oIdx=0 buffer=0 iui=0


/* local read b */

_ds_load_b128 v[vgprValuB_X0_I0+0:vgprValuB_X0_I0+0+3], v[vgprLocalReadAddrB] offset:0 // L -> Reg lro=0 swapByteOffset=0 ti=16 vIdx=0 rIdx=0 oIdx=0 buffer=0 iui=0
_ds_load_b128 v[vgprValuB_X0_I0+4:vgprValuB_X0_I0+4+3], v[vgprLocalReadAddrB] offset:256 // L -> Reg lro=0 swapByteOffset=0 ti=16 vIdx=1 rIdx=0 oIdx=0 buffer=0 iui=0


/* local read inc a */

s_mov_b32 s10, 0x200                               // inc
_v_add_co_u32 v[vgprLocalReadAddrA], vcc, s10, v[vgprLocalReadAddrA] // lrA += 512 (LSU*(MT+PAD)*bpe)


/* local read inc b */

s_mov_b32 s10, 0x200                               // inc
_v_add_co_u32 v[vgprLocalReadAddrB], vcc, s10, v[vgprLocalReadAddrB] // lrB += 512 (LSU*(MT+PAD)*bpe)

s_waitcnt lgkmcnt(0)                               // lgkmcnt=0 vmcnt=-14wait for local read

MAC_8x8_X0

/* closeLoop loopL finalLoop=1 tailLoop=1 */
s_sub_i32 s[sgprLoopCounterL], s[sgprLoopCounterL], 0x1 // dec counterL (tailLoop)
s_add_u32 s[sgprOrigLoopCounter], s[sgprOrigLoopCounter], 0x1 // inc counterL
s_cmp_le_i32 s[sgprLoopCounterL], 0x0              // counterL<=0
s_cbranch_scc0 TailLoopBeginL_6                    // restart LoopL
TailLoopEndL_7:

SkipTailLoopL_8:

Summation_End_17:
/* endSummation: add vgpr [64...118) to pool */


/* shift vector components d1 */

v_mov_b32 v65, s[sgprWorkGroup1]                   // 
v_mul_i32_i24 v65, -0x80, v65                      // wg*MT
_v_add_co_u32 v65, vcc, s[sgprSizesFree+1], v65    // wgMT = Size - wg*MT
v_mov_b32 v64, 0x80                                // MT
v_min_u32 v65, v64, v65                            // wgMT = (wgMT < MT) ? wgMT : MT
v_lshrrev_b32 v64, 2, v65                          // v64 = v65 / 4
v_and_b32 v66, 3, v65                              // v66 = v65 % 4
v_and_b32 v67, 15, v64                             // v67 = v64 % 16
v_lshrrev_b32 v68, 4, v[vgprSerial]                // v68 = v[vgprSerial] / 16
v_and_b32 v69, 15, v68                             // v69 = v68 % 16
v_lshrrev_b32 v68, 6, v65                          // v68 = v65 / 64
v_and_b32 v70, 3, v65                              // v70 = v65 % 4
v_mov_b32 v71, v70                                 // duplicate
v_lshrrev_b32 v70, 2, v71                          // v70 = v71 / 4
_v_add_co_u32 v70, vcc, v68, v70                   // vId = 2 components
v_cmp_eq_u32 vcc, v66, 0x1                         // wgMT%VW == 1
s_cbranch_vccnz label_0018                         // shift d1 r=1
v_cmp_eq_u32 vcc, v66, 0x2                         // wgMT%VW == 2
s_cbranch_vccnz label_0021                         // shift d1 r=2
v_cmp_eq_u32 vcc, v66, 0x3                         // wgMT%VW == 3
s_cbranch_vccnz label_0024                         // shift d1 r=3
s_branch label_0027                                // no shifting

/******************************************/
/* shift d1 r=1                           */
/******************************************/
label_0018:
v_cmp_eq_u32 vcc, v70, 0x0                         // wgMT/(SG*VW) == 0
s_cbranch_vccnz label_0019                         // shift d1, r=1, v=0
v_cmp_eq_u32 vcc, v70, 0x1                         // wgMT/(SG*VW) == 1
s_cbranch_vccnz label_0020                         // shift d1, r=1, v=1

/* shift d1 r=1 v=0 */
label_0019:
_v_cmpx_eq_u32 s[10:11], v69, v67                  // serial % SG == (wgMT/VECTOR_WIDTH)%SG
// src=24, dst=0
v_mov_b32 v0, v24                                  // rC[0+0*TT0I*VW+0*TT0I] = rC[0+0*TT0I*VW+3*TT0I]
// src=25, dst=1
v_mov_b32 v1, v25                                  // rC[1+0*TT0I*VW+0*TT0I] = rC[1+0*TT0I*VW+3*TT0I]
	;; [unrolled: 2-line block ×8, first 2 shown]
s_mov_b64 s[10:11], 0xFFFFFFFFFFFFFFFF             // to restore all threads active
s_or_saveexec_b64 vcc, s[10:11]                    // all threads active
s_branch label_0027                                // done shifting

/* shift d1 r=1 v=1 */
label_0020:
_v_cmpx_eq_u32 s[10:11], v69, v67                  // serial % SG == (wgMT/VECTOR_WIDTH)%SG
// src=56, dst=32
v_mov_b32 v32, v56                                 // rC[0+1*TT0I*VW+0*TT0I] = rC[0+1*TT0I*VW+3*TT0I]
// src=57, dst=33
v_mov_b32 v33, v57                                 // rC[1+1*TT0I*VW+0*TT0I] = rC[1+1*TT0I*VW+3*TT0I]
	;; [unrolled: 2-line block ×8, first 2 shown]
s_mov_b64 s[10:11], 0xFFFFFFFFFFFFFFFF             // to restore all threads active
s_or_saveexec_b64 vcc, s[10:11]                    // all threads active
s_branch label_0027                                // done shifting

/******************************************/
/* shift d1 r=2                           */
/******************************************/
label_0021:
v_cmp_eq_u32 vcc, v70, 0x0                         // wgMT/(SG*VW) == 0
s_cbranch_vccnz label_0022                         // shift d1, r=2, v=0
v_cmp_eq_u32 vcc, v70, 0x1                         // wgMT/(SG*VW) == 1
s_cbranch_vccnz label_0023                         // shift d1, r=2, v=1

/* shift d1 r=2 v=0 */
label_0022:
_v_cmpx_eq_u32 s[10:11], v69, v67                  // serial % SG == (wgMT/VECTOR_WIDTH)%SG
// src=16, dst=0
v_mov_b32 v0, v16                                  // rC[0+0*TT0I*VW+0*TT0I] = rC[0+0*TT0I*VW+2*TT0I]
// src=24, dst=8
v_mov_b32 v8, v24                                  // rC[0+0*TT0I*VW+1*TT0I] = rC[0+0*TT0I*VW+3*TT0I]
	;; [unrolled: 2-line block ×5, first 2 shown]
// src=26, dst=10
v_mov_b32 v10, v26                                 // rC[2+0*TT0I*VW+1*TT0I] = rC[2+0*TT0I*VW+3*TT0I]
// src=19, dst=3
v_mov_b32 v3, v19                                  // rC[3+0*TT0I*VW+0*TT0I] = rC[3+0*TT0I*VW+2*TT0I]
// src=27, dst=11
v_mov_b32 v11, v27                                 // rC[3+0*TT0I*VW+1*TT0I] = rC[3+0*TT0I*VW+3*TT0I]
// src=20, dst=4
v_mov_b32 v4, v20                                  // rC[4+0*TT0I*VW+0*TT0I] = rC[4+0*TT0I*VW+2*TT0I]
	;; [unrolled: 4-line block ×5, first 2 shown]
// src=31, dst=15
v_mov_b32 v15, v31                                 // rC[7+0*TT0I*VW+1*TT0I] = rC[7+0*TT0I*VW+3*TT0I]
s_mov_b64 s[10:11], 0xFFFFFFFFFFFFFFFF             // to restore all threads active
s_or_saveexec_b64 vcc, s[10:11]                    // all threads active
s_branch label_0027                                // done shifting

/* shift d1 r=2 v=1 */
label_0023:
_v_cmpx_eq_u32 s[10:11], v69, v67                  // serial % SG == (wgMT/VECTOR_WIDTH)%SG
// src=48, dst=32
v_mov_b32 v32, v48                                 // rC[0+1*TT0I*VW+0*TT0I] = rC[0+1*TT0I*VW+2*TT0I]
// src=56, dst=40
v_mov_b32 v40, v56                                 // rC[0+1*TT0I*VW+1*TT0I] = rC[0+1*TT0I*VW+3*TT0I]
	;; [unrolled: 2-line block ×16, first 2 shown]
s_mov_b64 s[10:11], 0xFFFFFFFFFFFFFFFF             // to restore all threads active
s_or_saveexec_b64 vcc, s[10:11]                    // all threads active
s_branch label_0027                                // done shifting

/******************************************/
/* shift d1 r=3                           */
/******************************************/
label_0024:
v_cmp_eq_u32 vcc, v70, 0x0                         // wgMT/(SG*VW) == 0
s_cbranch_vccnz label_0025                         // shift d1, r=3, v=0
v_cmp_eq_u32 vcc, v70, 0x1                         // wgMT/(SG*VW) == 1
s_cbranch_vccnz label_0026                         // shift d1, r=3, v=1

/* shift d1 r=3 v=0 */
label_0025:
_v_cmpx_eq_u32 s[10:11], v69, v67                  // serial % SG == (wgMT/VECTOR_WIDTH)%SG
// src=8, dst=0
v_mov_b32 v0, v8                                   // rC[0+0*TT0I*VW+0*TT0I] = rC[0+0*TT0I*VW+1*TT0I]
// src=16, dst=8
v_mov_b32 v8, v16                                  // rC[0+0*TT0I*VW+1*TT0I] = rC[0+0*TT0I*VW+2*TT0I]
// src=24, dst=16
v_mov_b32 v16, v24                                 // rC[0+0*TT0I*VW+2*TT0I] = rC[0+0*TT0I*VW+3*TT0I]
// src=9, dst=1
v_mov_b32 v1, v9                                   // rC[1+0*TT0I*VW+0*TT0I] = rC[1+0*TT0I*VW+1*TT0I]
// src=17, dst=9
v_mov_b32 v9, v17                                  // rC[1+0*TT0I*VW+1*TT0I] = rC[1+0*TT0I*VW+2*TT0I]
// src=25, dst=17
v_mov_b32 v17, v25                                 // rC[1+0*TT0I*VW+2*TT0I] = rC[1+0*TT0I*VW+3*TT0I]
// src=10, dst=2
v_mov_b32 v2, v10                                  // rC[2+0*TT0I*VW+0*TT0I] = rC[2+0*TT0I*VW+1*TT0I]
// src=18, dst=10
v_mov_b32 v10, v18                                 // rC[2+0*TT0I*VW+1*TT0I] = rC[2+0*TT0I*VW+2*TT0I]
// src=26, dst=18
v_mov_b32 v18, v26                                 // rC[2+0*TT0I*VW+2*TT0I] = rC[2+0*TT0I*VW+3*TT0I]
// src=11, dst=3
v_mov_b32 v3, v11                                  // rC[3+0*TT0I*VW+0*TT0I] = rC[3+0*TT0I*VW+1*TT0I]
// src=19, dst=11
v_mov_b32 v11, v19                                 // rC[3+0*TT0I*VW+1*TT0I] = rC[3+0*TT0I*VW+2*TT0I]
	;; [unrolled: 6-line block ×6, first 2 shown]
// src=31, dst=23
v_mov_b32 v23, v31                                 // rC[7+0*TT0I*VW+2*TT0I] = rC[7+0*TT0I*VW+3*TT0I]
s_mov_b64 s[10:11], 0xFFFFFFFFFFFFFFFF             // to restore all threads active
s_or_saveexec_b64 vcc, s[10:11]                    // all threads active
s_branch label_0027                                // done shifting

/* shift d1 r=3 v=1 */
label_0026:
_v_cmpx_eq_u32 s[10:11], v69, v67                  // serial % SG == (wgMT/VECTOR_WIDTH)%SG
// src=40, dst=32
v_mov_b32 v32, v40                                 // rC[0+1*TT0I*VW+0*TT0I] = rC[0+1*TT0I*VW+1*TT0I]
// src=48, dst=40
v_mov_b32 v40, v48                                 // rC[0+1*TT0I*VW+1*TT0I] = rC[0+1*TT0I*VW+2*TT0I]
	;; [unrolled: 2-line block ×24, first 2 shown]
s_mov_b64 s[10:11], 0xFFFFFFFFFFFFFFFF             // to restore all threads active
s_or_saveexec_b64 vcc, s[10:11]                    // all threads active
s_branch label_0027                                // done shifting
label_0027: // end shift0


	;; [unrolled: 1-line block ×3, first 2 shown]
/* not-LocalSplitU: global write indices */

/* computeStoreVgprs */
v_lshrrev_b32 v65, 4, v[vgprSerial]                // v65 = v[vgprSerial] / 16
v_and_b32 v64, 15, v[vgprSerial]                   // v64 = v[vgprSerial] % 16
v_lshlrev_b32 v64, 0x2, v64                        // v64 = v64 * 4
v_lshlrev_b32 v65, 0x2, v65                        // v65 = v65 * 4
v_mul_lo_u32 v66, v65, s[sgprStrideC1J]            // rowStart vgpr
v_mul_lo_u32 v67, v65, s[sgprStrideD1J]            // rowStart vgpr

s_mul_i32 s58, 0x80, s[sgprWorkGroup0]             // s58 = wg0*MT0
_v_add_co_u32 v64, vcc, s58, v64                   // coord0 = tid0*VW + wg0*MT0
s_mul_i32 s60, 0x80, s[sgprWorkGroup1]             // <- wg1*MT1
_v_add_co_u32 v65, vcc, s60, v65                   // coord1 = tid1*VW + wg1*MT1


/* not-LocalSplitU: global write */

s_and_b32 s58, 127, s[sgprSizeI]                   // s58 = s[sgprSizeI] % 128
s_add_u32 s59, -0x1, s[sgprNumWorkGroups0]         // 
s_cmp_ge_u32 s[sgprWorkGroup0], s59                // wg0 >= nwg0-1 ?
s_cselect_b32 s58, s58, 0                          // set rMT0
s_cmpk_gt_u32 s58, 0x0                             // rMT0 > 0
s_cbranch_scc1 GW_B0_E1_35                         // jump if edges required
s_and_b32 s58, 127, s[sgprSizeJ]                   // s58 = s[sgprSizeJ] % 128
s_add_u32 s59, -0x1, s[sgprNumWorkGroups1]         // 
s_cmp_ge_u32 s[sgprWorkGroup1], s59                // wg1 >= nwg1-1
s_cselect_b32 s58, s58, 0                          // set rMT1
s_cmpk_gt_u32 s58, 0x0                             // rMT1 > 0
s_cbranch_scc1 GW_B0_E1_35                         // jump if edges required
GW_B0_E0_32:

/* edge=0, allocate 44 sgpr. perBatchTmpS=4 perBatchMaskS=0 perElementMaskS=8 elementsPerBatch=5 */
/* optSingleColVgpr=0 optSharedColVgpr=0 optSGPRUsage=None optSrdIncForRow=0 */

/******************************************/
/* Global Write Alpha Batch #0 (d1,d0,vc1,vc0) = */
/*    (0,0,0,0:vw4:vaw:1); (0,1,0,0:vw4:vaw:1); (0,0,1,0:vw4:vaw:1); (0,1,1,0:vw4:vaw:1); (0,0,2,0:vw4:vaw:1) */
/******************************************/

/* calc coords, apply mask, and issue loads (if necessary) */
/* (d1,vc1,d0,vc0)=(0,0,0,0) */
_v_add_lshl_u32 v70, v67, v64, 0x2                 // scaleToBpe: accumulate d0 lower and *= bpe into Cin addr
_buffer_load_b128 v[76:79], v70, s[sgprSrdD:sgprSrdD+3], 0, offen offset:0 // load D (atomic) bpm=16 vaw=1
/* (d1,vc1,d0,vc0)=(0,0,1,0) */
_v_add_co_u32 v68, vcc, v64, 64                    // coord0.1: coord0 += d0*sg0*VW + vc0
_v_add_lshl_u32 v71, v67, v68, 0x2                 // scaleToBpe: accumulate d0 lower and *= bpe into Cin addr
_buffer_load_b128 v[84:87], v71, s[sgprSrdD:sgprSrdD+3], 0, offen offset:0 // load D (atomic) bpm=16 vaw=1
/* (d1,vc1,d0,vc0)=(0,1,0,0) */

/* Fix for UseInitialStridesCD, emitAddressSetupCode */
_v_add_u32 v66, v66, s[sgprStrideC1J]              // ROWINC- Move cinRowPtr to next row
_v_add_u32 v67, v67, s[sgprStrideD1J]              // Move coutRowPtr to next row
_v_add_lshl_u32 v88, v67, v64, 0x2                 // scaleToBpe: accumulate d0 lower and *= bpe into Cin addr
_buffer_load_b128 v[100:103], v88, s[sgprSrdD:sgprSrdD+3], 0, offen offset:0 // load D (atomic) bpm=16 vaw=1
/* (d1,vc1,d0,vc0)=(0,1,1,0) */
_v_add_co_u32 v68, vcc, v64, 64                    // coord0.1: coord0 += d0*sg0*VW + vc0
_v_add_lshl_u32 v89, v67, v68, 0x2                 // scaleToBpe: accumulate d0 lower and *= bpe into Cin addr
_buffer_load_b128 v[108:111], v89, s[sgprSrdD:sgprSrdD+3], 0, offen offset:0 // load D (atomic) bpm=16 vaw=1
/* (d1,vc1,d0,vc0)=(0,2,0,0) */

/* Fix for UseInitialStridesCD, emitAddressSetupCode */
_v_add_u32 v66, v66, s[sgprStrideC1J]              // ROWINC- Move cinRowPtr to next row
_v_add_u32 v67, v67, s[sgprStrideD1J]              // Move coutRowPtr to next row
_v_add_lshl_u32 v90, v67, v64, 0x2                 // scaleToBpe: accumulate d0 lower and *= bpe into Cin addr
_buffer_load_b128 v[132:135], v90, s[sgprSrdD:sgprSrdD+3], 0, offen offset:0 // load D (atomic) bpm=16 vaw=1

/* rC *= alpha batchElements=[(0, 0, 0, 0), (0, 1, 0, 0), (0, 0, 1, 0), (0, 1, 1, 0), (0, 0, 2, 0)] */
v_mul_f32 v[vgprValuC+0], s[sgprAlpha], v[vgprValuC+0] // *= alpha
v_mul_f32 v[vgprValuC+1], s[sgprAlpha], v[vgprValuC+1] // *= alpha
	;; [unrolled: 1-line block ×20, first 2 shown]
s_waitcnt vmcnt(0)                                 // wait C (atomic)

/* issue first atomic writes */
v_mov_b32 v73, v76                                 // v_mov for reordering loaded data
v_mov_b32 v75, v77                                 // v_mov for reordering loaded data
	;; [unrolled: 1-line block ×3, first 2 shown]
v_add_f32 v72, v73, v[vgprValuC+0]                 // desired value
_buffer_atomic_cmpswap_b32 v[72:73], v70, s[sgprSrdD:sgprSrdD+3] 0 offen offset:0 glc   // attempt write
v_add_f32 v74, v75, v[vgprValuC+1]                 // desired value
_buffer_atomic_cmpswap_b32 v[74:75], v70, s[sgprSrdD:sgprSrdD+3] 0 offen offset:4 glc   // attempt write
	;; [unrolled: 2-line block ×4, first 2 shown]
v_mov_b32 v81, v84                                 // v_mov for reordering loaded data
v_mov_b32 v83, v85                                 // v_mov for reordering loaded data
	;; [unrolled: 1-line block ×3, first 2 shown]
v_add_f32 v80, v81, v[vgprValuC+4]                 // desired value
_buffer_atomic_cmpswap_b32 v[80:81], v71, s[sgprSrdD:sgprSrdD+3] 0 offen offset:0 glc   // attempt write
v_add_f32 v82, v83, v[vgprValuC+5]                 // desired value
_buffer_atomic_cmpswap_b32 v[82:83], v71, s[sgprSrdD:sgprSrdD+3] 0 offen offset:4 glc   // attempt write
v_add_f32 v84, v85, v[vgprValuC+6]                 // desired value
_buffer_atomic_cmpswap_b32 v[84:85], v71, s[sgprSrdD:sgprSrdD+3] 0 offen offset:8 glc   // attempt write
v_add_f32 v86, v87, v[vgprValuC+7]                 // desired value
_buffer_atomic_cmpswap_b32 v[86:87], v71, s[sgprSrdD:sgprSrdD+3] 0 offen offset:12 glc   // attempt write
v_mov_b32 v97, v100                                // v_mov for reordering loaded data
v_mov_b32 v99, v101                                // v_mov for reordering loaded data
v_mov_b32 v101, v102                               // v_mov for reordering loaded data
v_add_f32 v96, v97, v[vgprValuC+8]                 // desired value
_buffer_atomic_cmpswap_b32 v[96:97], v88, s[sgprSrdD:sgprSrdD+3] 0 offen offset:0 glc   // attempt write
v_add_f32 v98, v99, v[vgprValuC+9]                 // desired value
_buffer_atomic_cmpswap_b32 v[98:99], v88, s[sgprSrdD:sgprSrdD+3] 0 offen offset:4 glc   // attempt write
v_add_f32 v100, v101, v[vgprValuC+10]              // desired value
_buffer_atomic_cmpswap_b32 v[100:101], v88, s[sgprSrdD:sgprSrdD+3] 0 offen offset:8 glc   // attempt write
v_add_f32 v102, v103, v[vgprValuC+11]              // desired value
_buffer_atomic_cmpswap_b32 v[102:103], v88, s[sgprSrdD:sgprSrdD+3] 0 offen offset:12 glc   // attempt write
v_mov_b32 v105, v108                               // v_mov for reordering loaded data
v_mov_b32 v107, v109                               // v_mov for reordering loaded data
	;; [unrolled: 1-line block ×3, first 2 shown]
v_add_f32 v104, v105, v[vgprValuC+12]              // desired value
_buffer_atomic_cmpswap_b32 v[104:105], v89, s[sgprSrdD:sgprSrdD+3] 0 offen offset:0 glc   // attempt write
v_add_f32 v106, v107, v[vgprValuC+13]              // desired value
_buffer_atomic_cmpswap_b32 v[106:107], v89, s[sgprSrdD:sgprSrdD+3] 0 offen offset:4 glc   // attempt write
	;; [unrolled: 2-line block ×4, first 2 shown]
v_mov_b32 v129, v132                               // v_mov for reordering loaded data
v_mov_b32 v131, v133                               // v_mov for reordering loaded data
	;; [unrolled: 1-line block ×3, first 2 shown]
v_add_f32 v128, v129, v[vgprValuC+16]              // desired value
_buffer_atomic_cmpswap_b32 v[128:129], v90, s[sgprSrdD:sgprSrdD+3] 0 offen offset:0 glc   // attempt write
v_add_f32 v130, v131, v[vgprValuC+17]              // desired value
_buffer_atomic_cmpswap_b32 v[130:131], v90, s[sgprSrdD:sgprSrdD+3] 0 offen offset:4 glc   // attempt write
	;; [unrolled: 2-line block ×4, first 2 shown]
s_waitcnt vmcnt(0)                                 // wait for atomic writes

/* check success of writes, update masks */
v_cmp_ne_u32 s[62:63], v72, v73                    // c read during atomic != c read during prior load
v_cmp_ne_u32 s[64:65], v74, v75                    // c read during atomic != c read during prior load
	;; [unrolled: 1-line block ×10, first 2 shown]
v_cmp_ne_u32 s[82:83], v100, v101                  // c read during atomic != c read during prior load
v_cmp_ne_u32 s[84:85], v102, v103                  // c read during atomic != c read during prior load
	;; [unrolled: 1-line block ×9, first 2 shown]
v_cmp_ne_u32 s[100:101], v134, v135                // c read during atomic != c read during prior load

/* or masks to check for exit */
s_mov_b64 s[58:59], 0x0                            // empty mask
s_or_b64 s[58:59], s[62:63], s[58:59]              // or to add threads
s_or_b64 s[58:59], s[64:65], s[58:59]              // or to add threads
	;; [unrolled: 1-line block ×19, first 2 shown]
s_or_b64 s[58:59], s[100:101], s[58:59]            // or to add threads
s_or_saveexec_b64 s[60:61], s[58:59]               // apply combined mask
s_cbranch_execz label_0043                         // if exec is zero skip loop

/* atomic CAS loop */
label_0042:

/* apply updated masks and issue writes again */
s_mov_b64 exec, s[62:63]                           // must try again
v_mov_b32 v73, v72                                 // dataV+1 = tmp (new original C)
v_add_f32 v72, v73, v[vgprValuC+0]                 // newC = rC + originalC
_buffer_atomic_cmpswap_b32 v[72:73], v70, s[sgprSrdD:sgprSrdD+3] 0 offen offset:0 glc   // attempt write
s_mov_b64 exec, s[64:65]                           // must try again
v_mov_b32 v75, v74                                 // dataV+1 = tmp (new original C)
v_add_f32 v74, v75, v[vgprValuC+1]                 // newC = rC + originalC
_buffer_atomic_cmpswap_b32 v[74:75], v70, s[sgprSrdD:sgprSrdD+3] 0 offen offset:4 glc   // attempt write
	;; [unrolled: 4-line block ×10, first 2 shown]
s_mov_b64 exec, s[82:83]                           // must try again
v_mov_b32 v101, v100                               // dataV+1 = tmp (new original C)
v_add_f32 v100, v101, v[vgprValuC+10]              // newC = rC + originalC
_buffer_atomic_cmpswap_b32 v[100:101], v88, s[sgprSrdD:sgprSrdD+3] 0 offen offset:8 glc   // attempt write
s_mov_b64 exec, s[84:85]                           // must try again
v_mov_b32 v103, v102                               // dataV+1 = tmp (new original C)
v_add_f32 v102, v103, v[vgprValuC+11]              // newC = rC + originalC
_buffer_atomic_cmpswap_b32 v[102:103], v88, s[sgprSrdD:sgprSrdD+3] 0 offen offset:12 glc   // attempt write
	;; [unrolled: 4-line block ×9, first 2 shown]
s_mov_b64 exec, s[100:101]                         // must try again
v_mov_b32 v135, v134                               // dataV+1 = tmp (new original C)
v_add_f32 v134, v135, v[vgprValuC+19]              // newC = rC + originalC
_buffer_atomic_cmpswap_b32 v[134:135], v90, s[sgprSrdD:sgprSrdD+3] 0 offen offset:12 glc   // attempt write
s_waitcnt vmcnt(0)                                 // wait for atomic writes

/* apply masks and check for success */
s_mov_b64 exec, s[62:63]                           // must try again
v_cmp_ne_u32 s[58:59], v72, v73                    // c read during atomic != c read during prior load
s_and_b64 s[62:63], s[58:59], s[62:63]             // inBounds & must try again
s_mov_b64 exec, s[64:65]                           // must try again
v_cmp_ne_u32 s[58:59], v74, v75                    // c read during atomic != c read during prior load
s_and_b64 s[64:65], s[58:59], s[64:65]             // inBounds & must try again
	;; [unrolled: 3-line block ×10, first 2 shown]
s_mov_b64 exec, s[82:83]                           // must try again
v_cmp_ne_u32 s[58:59], v100, v101                  // c read during atomic != c read during prior load
s_and_b64 s[82:83], s[58:59], s[82:83]             // inBounds & must try again
s_mov_b64 exec, s[84:85]                           // must try again
v_cmp_ne_u32 s[58:59], v102, v103                  // c read during atomic != c read during prior load
s_and_b64 s[84:85], s[58:59], s[84:85]             // inBounds & must try again
	;; [unrolled: 3-line block ×9, first 2 shown]
s_mov_b64 exec, s[100:101]                         // must try again
v_cmp_ne_u32 s[58:59], v134, v135                  // c read during atomic != c read during prior load
s_and_b64 s[100:101], s[58:59], s[100:101]         // inBounds & must try again

/* or masks to check for exit */
s_mov_b64 s[58:59], 0x0                            // empty mask
s_or_b64 s[58:59], s[62:63], s[58:59]              // or to add threads
s_or_b64 s[58:59], s[64:65], s[58:59]              // or to add threads
	;; [unrolled: 1-line block ×19, first 2 shown]
s_or_b64 s[58:59], s[100:101], s[58:59]            // or to add threads
s_or_saveexec_b64 s[60:61], s[58:59]               // apply combined mask
s_cbranch_execnz label_0042                        // try again if not complete
label_0043:
s_mov_b64 exec, -1                                 // full mask -> exec
/* optSingleColVgpr=0 optSharedColVgpr=0 optSGPRUsage=None optSrdIncForRow=0 */

/******************************************/
/* Global Write Alpha Batch #1 (d1,d0,vc1,vc0) = */
/*    (0,1,2,0:vw4:vaw:1); (0,0,3,0:vw4:vaw:1); (0,1,3,0:vw4:vaw:1); (1,0,0,0:vw4:vaw:1); (1,1,0,0:vw4:vaw:1) */
/******************************************/

/* calc coords, apply mask, and issue loads (if necessary) */
/* (d1,vc1,d0,vc0)=(0,2,1,0) */
_v_add_co_u32 v68, vcc, v64, 64                    // coord0.1: coord0 += d0*sg0*VW + vc0
_v_add_lshl_u32 v70, v67, v68, 0x2                 // scaleToBpe: accumulate d0 lower and *= bpe into Cin addr
_buffer_load_b128 v[76:79], v70, s[sgprSrdD:sgprSrdD+3], 0, offen offset:0 // load D (atomic) bpm=16 vaw=1
/* (d1,vc1,d0,vc0)=(0,3,0,0) */

/* Fix for UseInitialStridesCD, emitAddressSetupCode */
_v_add_u32 v66, v66, s[sgprStrideC1J]              // ROWINC- Move cinRowPtr to next row
_v_add_u32 v67, v67, s[sgprStrideD1J]              // Move coutRowPtr to next row
_v_add_lshl_u32 v71, v67, v64, 0x2                 // scaleToBpe: accumulate d0 lower and *= bpe into Cin addr
_buffer_load_b128 v[84:87], v71, s[sgprSrdD:sgprSrdD+3], 0, offen offset:0 // load D (atomic) bpm=16 vaw=1
/* (d1,vc1,d0,vc0)=(0,3,1,0) */
_v_add_co_u32 v68, vcc, v64, 64                    // coord0.1: coord0 += d0*sg0*VW + vc0
_v_add_lshl_u32 v88, v67, v68, 0x2                 // scaleToBpe: accumulate d0 lower and *= bpe into Cin addr
_buffer_load_b128 v[100:103], v88, s[sgprSrdD:sgprSrdD+3], 0, offen offset:0 // load D (atomic) bpm=16 vaw=1
/* (d1,vc1,d0,vc0)=(1,0,0,0) */

/* Fix for UseInitialStridesCD, emitAddressSetupCode */
s_mul_i32 s58, s[sgprStrideC1J], 61                // scale stride
_v_add_u32 v66, v66, s58                           // ROWINC- Move cinRowPtr to next row
s_mul_i32 s58, s[sgprStrideD1J], 61                // scale stride
_v_add_u32 v67, v67, s58                           // Move coutRowPtr to next row
_v_add_lshl_u32 v89, v67, v64, 0x2                 // scaleToBpe: accumulate d0 lower and *= bpe into Cin addr
_buffer_load_b128 v[108:111], v89, s[sgprSrdD:sgprSrdD+3], 0, offen offset:0 // load D (atomic) bpm=16 vaw=1
/* (d1,vc1,d0,vc0)=(1,0,1,0) */
_v_add_co_u32 v68, vcc, v64, 64                    // coord0.1: coord0 += d0*sg0*VW + vc0
_v_add_lshl_u32 v90, v67, v68, 0x2                 // scaleToBpe: accumulate d0 lower and *= bpe into Cin addr
_buffer_load_b128 v[132:135], v90, s[sgprSrdD:sgprSrdD+3], 0, offen offset:0 // load D (atomic) bpm=16 vaw=1

/* rC *= alpha batchElements=[(0, 1, 2, 0), (0, 0, 3, 0), (0, 1, 3, 0), (1, 0, 0, 0), (1, 1, 0, 0)] */
v_mul_f32 v[vgprValuC+20], s[sgprAlpha], v[vgprValuC+20] // *= alpha
v_mul_f32 v[vgprValuC+21], s[sgprAlpha], v[vgprValuC+21] // *= alpha
	;; [unrolled: 1-line block ×20, first 2 shown]
s_waitcnt vmcnt(0)                                 // wait C (atomic)

/* issue first atomic writes */
v_mov_b32 v73, v76                                 // v_mov for reordering loaded data
v_mov_b32 v75, v77                                 // v_mov for reordering loaded data
	;; [unrolled: 1-line block ×3, first 2 shown]
v_add_f32 v72, v73, v[vgprValuC+20]                // desired value
_buffer_atomic_cmpswap_b32 v[72:73], v70, s[sgprSrdD:sgprSrdD+3] 0 offen offset:0 glc   // attempt write
v_add_f32 v74, v75, v[vgprValuC+21]                // desired value
_buffer_atomic_cmpswap_b32 v[74:75], v70, s[sgprSrdD:sgprSrdD+3] 0 offen offset:4 glc   // attempt write
	;; [unrolled: 2-line block ×4, first 2 shown]
v_mov_b32 v81, v84                                 // v_mov for reordering loaded data
v_mov_b32 v83, v85                                 // v_mov for reordering loaded data
	;; [unrolled: 1-line block ×3, first 2 shown]
v_add_f32 v80, v81, v[vgprValuC+24]                // desired value
_buffer_atomic_cmpswap_b32 v[80:81], v71, s[sgprSrdD:sgprSrdD+3] 0 offen offset:0 glc   // attempt write
v_add_f32 v82, v83, v[vgprValuC+25]                // desired value
_buffer_atomic_cmpswap_b32 v[82:83], v71, s[sgprSrdD:sgprSrdD+3] 0 offen offset:4 glc   // attempt write
	;; [unrolled: 2-line block ×4, first 2 shown]
v_mov_b32 v97, v100                                // v_mov for reordering loaded data
v_mov_b32 v99, v101                                // v_mov for reordering loaded data
v_mov_b32 v101, v102                               // v_mov for reordering loaded data
v_add_f32 v96, v97, v[vgprValuC+28]                // desired value
_buffer_atomic_cmpswap_b32 v[96:97], v88, s[sgprSrdD:sgprSrdD+3] 0 offen offset:0 glc   // attempt write
v_add_f32 v98, v99, v[vgprValuC+29]                // desired value
_buffer_atomic_cmpswap_b32 v[98:99], v88, s[sgprSrdD:sgprSrdD+3] 0 offen offset:4 glc   // attempt write
v_add_f32 v100, v101, v[vgprValuC+30]              // desired value
_buffer_atomic_cmpswap_b32 v[100:101], v88, s[sgprSrdD:sgprSrdD+3] 0 offen offset:8 glc   // attempt write
v_add_f32 v102, v103, v[vgprValuC+31]              // desired value
_buffer_atomic_cmpswap_b32 v[102:103], v88, s[sgprSrdD:sgprSrdD+3] 0 offen offset:12 glc   // attempt write
v_mov_b32 v105, v108                               // v_mov for reordering loaded data
v_mov_b32 v107, v109                               // v_mov for reordering loaded data
	;; [unrolled: 1-line block ×3, first 2 shown]
v_add_f32 v104, v105, v[vgprValuC+32]              // desired value
_buffer_atomic_cmpswap_b32 v[104:105], v89, s[sgprSrdD:sgprSrdD+3] 0 offen offset:0 glc   // attempt write
v_add_f32 v106, v107, v[vgprValuC+33]              // desired value
_buffer_atomic_cmpswap_b32 v[106:107], v89, s[sgprSrdD:sgprSrdD+3] 0 offen offset:4 glc   // attempt write
	;; [unrolled: 2-line block ×4, first 2 shown]
v_mov_b32 v129, v132                               // v_mov for reordering loaded data
v_mov_b32 v131, v133                               // v_mov for reordering loaded data
v_mov_b32 v133, v134                               // v_mov for reordering loaded data
v_add_f32 v128, v129, v[vgprValuC+36]              // desired value
_buffer_atomic_cmpswap_b32 v[128:129], v90, s[sgprSrdD:sgprSrdD+3] 0 offen offset:0 glc   // attempt write
v_add_f32 v130, v131, v[vgprValuC+37]              // desired value
_buffer_atomic_cmpswap_b32 v[130:131], v90, s[sgprSrdD:sgprSrdD+3] 0 offen offset:4 glc   // attempt write
	;; [unrolled: 2-line block ×4, first 2 shown]
s_waitcnt vmcnt(0)                                 // wait for atomic writes

/* check success of writes, update masks */
v_cmp_ne_u32 s[62:63], v72, v73                    // c read during atomic != c read during prior load
v_cmp_ne_u32 s[64:65], v74, v75                    // c read during atomic != c read during prior load
	;; [unrolled: 1-line block ×10, first 2 shown]
v_cmp_ne_u32 s[82:83], v100, v101                  // c read during atomic != c read during prior load
v_cmp_ne_u32 s[84:85], v102, v103                  // c read during atomic != c read during prior load
	;; [unrolled: 1-line block ×9, first 2 shown]
v_cmp_ne_u32 s[100:101], v134, v135                // c read during atomic != c read during prior load

/* or masks to check for exit */
s_mov_b64 s[58:59], 0x0                            // empty mask
s_or_b64 s[58:59], s[62:63], s[58:59]              // or to add threads
s_or_b64 s[58:59], s[64:65], s[58:59]              // or to add threads
	;; [unrolled: 1-line block ×19, first 2 shown]
s_or_b64 s[58:59], s[100:101], s[58:59]            // or to add threads
s_or_saveexec_b64 s[60:61], s[58:59]               // apply combined mask
s_cbranch_execz label_0045                         // if exec is zero skip loop

/* atomic CAS loop */
label_0044:

/* apply updated masks and issue writes again */
s_mov_b64 exec, s[62:63]                           // must try again
v_mov_b32 v73, v72                                 // dataV+1 = tmp (new original C)
v_add_f32 v72, v73, v[vgprValuC+20]                // newC = rC + originalC
_buffer_atomic_cmpswap_b32 v[72:73], v70, s[sgprSrdD:sgprSrdD+3] 0 offen offset:0 glc   // attempt write
s_mov_b64 exec, s[64:65]                           // must try again
v_mov_b32 v75, v74                                 // dataV+1 = tmp (new original C)
v_add_f32 v74, v75, v[vgprValuC+21]                // newC = rC + originalC
_buffer_atomic_cmpswap_b32 v[74:75], v70, s[sgprSrdD:sgprSrdD+3] 0 offen offset:4 glc   // attempt write
	;; [unrolled: 4-line block ×10, first 2 shown]
s_mov_b64 exec, s[82:83]                           // must try again
v_mov_b32 v101, v100                               // dataV+1 = tmp (new original C)
v_add_f32 v100, v101, v[vgprValuC+30]              // newC = rC + originalC
_buffer_atomic_cmpswap_b32 v[100:101], v88, s[sgprSrdD:sgprSrdD+3] 0 offen offset:8 glc   // attempt write
s_mov_b64 exec, s[84:85]                           // must try again
v_mov_b32 v103, v102                               // dataV+1 = tmp (new original C)
v_add_f32 v102, v103, v[vgprValuC+31]              // newC = rC + originalC
_buffer_atomic_cmpswap_b32 v[102:103], v88, s[sgprSrdD:sgprSrdD+3] 0 offen offset:12 glc   // attempt write
	;; [unrolled: 4-line block ×9, first 2 shown]
s_mov_b64 exec, s[100:101]                         // must try again
v_mov_b32 v135, v134                               // dataV+1 = tmp (new original C)
v_add_f32 v134, v135, v[vgprValuC+39]              // newC = rC + originalC
_buffer_atomic_cmpswap_b32 v[134:135], v90, s[sgprSrdD:sgprSrdD+3] 0 offen offset:12 glc   // attempt write
s_waitcnt vmcnt(0)                                 // wait for atomic writes

/* apply masks and check for success */
s_mov_b64 exec, s[62:63]                           // must try again
v_cmp_ne_u32 s[58:59], v72, v73                    // c read during atomic != c read during prior load
s_and_b64 s[62:63], s[58:59], s[62:63]             // inBounds & must try again
s_mov_b64 exec, s[64:65]                           // must try again
v_cmp_ne_u32 s[58:59], v74, v75                    // c read during atomic != c read during prior load
s_and_b64 s[64:65], s[58:59], s[64:65]             // inBounds & must try again
	;; [unrolled: 3-line block ×10, first 2 shown]
s_mov_b64 exec, s[82:83]                           // must try again
v_cmp_ne_u32 s[58:59], v100, v101                  // c read during atomic != c read during prior load
s_and_b64 s[82:83], s[58:59], s[82:83]             // inBounds & must try again
s_mov_b64 exec, s[84:85]                           // must try again
v_cmp_ne_u32 s[58:59], v102, v103                  // c read during atomic != c read during prior load
s_and_b64 s[84:85], s[58:59], s[84:85]             // inBounds & must try again
	;; [unrolled: 3-line block ×9, first 2 shown]
s_mov_b64 exec, s[100:101]                         // must try again
v_cmp_ne_u32 s[58:59], v134, v135                  // c read during atomic != c read during prior load
s_and_b64 s[100:101], s[58:59], s[100:101]         // inBounds & must try again

/* or masks to check for exit */
s_mov_b64 s[58:59], 0x0                            // empty mask
s_or_b64 s[58:59], s[62:63], s[58:59]              // or to add threads
s_or_b64 s[58:59], s[64:65], s[58:59]              // or to add threads
	;; [unrolled: 1-line block ×19, first 2 shown]
s_or_b64 s[58:59], s[100:101], s[58:59]            // or to add threads
s_or_saveexec_b64 s[60:61], s[58:59]               // apply combined mask
s_cbranch_execnz label_0044                        // try again if not complete
label_0045:
s_mov_b64 exec, -1                                 // full mask -> exec
/* optSingleColVgpr=0 optSharedColVgpr=0 optSGPRUsage=None optSrdIncForRow=0 */

/******************************************/
/* Global Write Alpha Batch #2 (d1,d0,vc1,vc0) = */
/*    (1,0,1,0:vw4:vaw:1); (1,1,1,0:vw4:vaw:1); (1,0,2,0:vw4:vaw:1); (1,1,2,0:vw4:vaw:1); (1,0,3,0:vw4:vaw:1) */
/******************************************/

/* calc coords, apply mask, and issue loads (if necessary) */
/* (d1,vc1,d0,vc0)=(1,1,0,0) */

/* Fix for UseInitialStridesCD, emitAddressSetupCode */
_v_add_u32 v66, v66, s[sgprStrideC1J]              // ROWINC- Move cinRowPtr to next row
_v_add_u32 v67, v67, s[sgprStrideD1J]              // Move coutRowPtr to next row
_v_add_lshl_u32 v70, v67, v64, 0x2                 // scaleToBpe: accumulate d0 lower and *= bpe into Cin addr
_buffer_load_b128 v[76:79], v70, s[sgprSrdD:sgprSrdD+3], 0, offen offset:0 // load D (atomic) bpm=16 vaw=1
/* (d1,vc1,d0,vc0)=(1,1,1,0) */
_v_add_co_u32 v68, vcc, v64, 64                    // coord0.1: coord0 += d0*sg0*VW + vc0
_v_add_lshl_u32 v71, v67, v68, 0x2                 // scaleToBpe: accumulate d0 lower and *= bpe into Cin addr
_buffer_load_b128 v[84:87], v71, s[sgprSrdD:sgprSrdD+3], 0, offen offset:0 // load D (atomic) bpm=16 vaw=1
/* (d1,vc1,d0,vc0)=(1,2,0,0) */

/* Fix for UseInitialStridesCD, emitAddressSetupCode */
_v_add_u32 v66, v66, s[sgprStrideC1J]              // ROWINC- Move cinRowPtr to next row
_v_add_u32 v67, v67, s[sgprStrideD1J]              // Move coutRowPtr to next row
_v_add_lshl_u32 v88, v67, v64, 0x2                 // scaleToBpe: accumulate d0 lower and *= bpe into Cin addr
_buffer_load_b128 v[100:103], v88, s[sgprSrdD:sgprSrdD+3], 0, offen offset:0 // load D (atomic) bpm=16 vaw=1
/* (d1,vc1,d0,vc0)=(1,2,1,0) */
_v_add_co_u32 v68, vcc, v64, 64                    // coord0.1: coord0 += d0*sg0*VW + vc0
_v_add_lshl_u32 v89, v67, v68, 0x2                 // scaleToBpe: accumulate d0 lower and *= bpe into Cin addr
_buffer_load_b128 v[108:111], v89, s[sgprSrdD:sgprSrdD+3], 0, offen offset:0 // load D (atomic) bpm=16 vaw=1
/* (d1,vc1,d0,vc0)=(1,3,0,0) */

/* Fix for UseInitialStridesCD, emitAddressSetupCode */
_v_add_u32 v66, v66, s[sgprStrideC1J]              // ROWINC- Move cinRowPtr to next row
_v_add_u32 v67, v67, s[sgprStrideD1J]              // Move coutRowPtr to next row
_v_add_lshl_u32 v90, v67, v64, 0x2                 // scaleToBpe: accumulate d0 lower and *= bpe into Cin addr
_buffer_load_b128 v[132:135], v90, s[sgprSrdD:sgprSrdD+3], 0, offen offset:0 // load D (atomic) bpm=16 vaw=1

/* rC *= alpha batchElements=[(1, 0, 1, 0), (1, 1, 1, 0), (1, 0, 2, 0), (1, 1, 2, 0), (1, 0, 3, 0)] */
v_mul_f32 v[vgprValuC+40], s[sgprAlpha], v[vgprValuC+40] // *= alpha
v_mul_f32 v[vgprValuC+41], s[sgprAlpha], v[vgprValuC+41] // *= alpha
	;; [unrolled: 1-line block ×20, first 2 shown]
s_waitcnt vmcnt(0)                                 // wait C (atomic)

/* issue first atomic writes */
v_mov_b32 v73, v76                                 // v_mov for reordering loaded data
v_mov_b32 v75, v77                                 // v_mov for reordering loaded data
	;; [unrolled: 1-line block ×3, first 2 shown]
v_add_f32 v72, v73, v[vgprValuC+40]                // desired value
_buffer_atomic_cmpswap_b32 v[72:73], v70, s[sgprSrdD:sgprSrdD+3] 0 offen offset:0 glc   // attempt write
v_add_f32 v74, v75, v[vgprValuC+41]                // desired value
_buffer_atomic_cmpswap_b32 v[74:75], v70, s[sgprSrdD:sgprSrdD+3] 0 offen offset:4 glc   // attempt write
	;; [unrolled: 2-line block ×4, first 2 shown]
v_mov_b32 v81, v84                                 // v_mov for reordering loaded data
v_mov_b32 v83, v85                                 // v_mov for reordering loaded data
	;; [unrolled: 1-line block ×3, first 2 shown]
v_add_f32 v80, v81, v[vgprValuC+44]                // desired value
_buffer_atomic_cmpswap_b32 v[80:81], v71, s[sgprSrdD:sgprSrdD+3] 0 offen offset:0 glc   // attempt write
v_add_f32 v82, v83, v[vgprValuC+45]                // desired value
_buffer_atomic_cmpswap_b32 v[82:83], v71, s[sgprSrdD:sgprSrdD+3] 0 offen offset:4 glc   // attempt write
v_add_f32 v84, v85, v[vgprValuC+46]                // desired value
_buffer_atomic_cmpswap_b32 v[84:85], v71, s[sgprSrdD:sgprSrdD+3] 0 offen offset:8 glc   // attempt write
v_add_f32 v86, v87, v[vgprValuC+47]                // desired value
_buffer_atomic_cmpswap_b32 v[86:87], v71, s[sgprSrdD:sgprSrdD+3] 0 offen offset:12 glc   // attempt write
v_mov_b32 v97, v100                                // v_mov for reordering loaded data
v_mov_b32 v99, v101                                // v_mov for reordering loaded data
v_mov_b32 v101, v102                               // v_mov for reordering loaded data
v_add_f32 v96, v97, v[vgprValuC+48]                // desired value
_buffer_atomic_cmpswap_b32 v[96:97], v88, s[sgprSrdD:sgprSrdD+3] 0 offen offset:0 glc   // attempt write
v_add_f32 v98, v99, v[vgprValuC+49]                // desired value
_buffer_atomic_cmpswap_b32 v[98:99], v88, s[sgprSrdD:sgprSrdD+3] 0 offen offset:4 glc   // attempt write
v_add_f32 v100, v101, v[vgprValuC+50]              // desired value
_buffer_atomic_cmpswap_b32 v[100:101], v88, s[sgprSrdD:sgprSrdD+3] 0 offen offset:8 glc   // attempt write
v_add_f32 v102, v103, v[vgprValuC+51]              // desired value
_buffer_atomic_cmpswap_b32 v[102:103], v88, s[sgprSrdD:sgprSrdD+3] 0 offen offset:12 glc   // attempt write
v_mov_b32 v105, v108                               // v_mov for reordering loaded data
v_mov_b32 v107, v109                               // v_mov for reordering loaded data
	;; [unrolled: 1-line block ×3, first 2 shown]
v_add_f32 v104, v105, v[vgprValuC+52]              // desired value
_buffer_atomic_cmpswap_b32 v[104:105], v89, s[sgprSrdD:sgprSrdD+3] 0 offen offset:0 glc   // attempt write
v_add_f32 v106, v107, v[vgprValuC+53]              // desired value
_buffer_atomic_cmpswap_b32 v[106:107], v89, s[sgprSrdD:sgprSrdD+3] 0 offen offset:4 glc   // attempt write
	;; [unrolled: 2-line block ×4, first 2 shown]
v_mov_b32 v129, v132                               // v_mov for reordering loaded data
v_mov_b32 v131, v133                               // v_mov for reordering loaded data
	;; [unrolled: 1-line block ×3, first 2 shown]
v_add_f32 v128, v129, v[vgprValuC+56]              // desired value
_buffer_atomic_cmpswap_b32 v[128:129], v90, s[sgprSrdD:sgprSrdD+3] 0 offen offset:0 glc   // attempt write
v_add_f32 v130, v131, v[vgprValuC+57]              // desired value
_buffer_atomic_cmpswap_b32 v[130:131], v90, s[sgprSrdD:sgprSrdD+3] 0 offen offset:4 glc   // attempt write
v_add_f32 v132, v133, v[vgprValuC+58]              // desired value
_buffer_atomic_cmpswap_b32 v[132:133], v90, s[sgprSrdD:sgprSrdD+3] 0 offen offset:8 glc   // attempt write
v_add_f32 v134, v135, v[vgprValuC+59]              // desired value
_buffer_atomic_cmpswap_b32 v[134:135], v90, s[sgprSrdD:sgprSrdD+3] 0 offen offset:12 glc   // attempt write
s_waitcnt vmcnt(0)                                 // wait for atomic writes

/* check success of writes, update masks */
v_cmp_ne_u32 s[62:63], v72, v73                    // c read during atomic != c read during prior load
v_cmp_ne_u32 s[64:65], v74, v75                    // c read during atomic != c read during prior load
	;; [unrolled: 1-line block ×10, first 2 shown]
v_cmp_ne_u32 s[82:83], v100, v101                  // c read during atomic != c read during prior load
v_cmp_ne_u32 s[84:85], v102, v103                  // c read during atomic != c read during prior load
	;; [unrolled: 1-line block ×9, first 2 shown]
v_cmp_ne_u32 s[100:101], v134, v135                // c read during atomic != c read during prior load

/* or masks to check for exit */
s_mov_b64 s[58:59], 0x0                            // empty mask
s_or_b64 s[58:59], s[62:63], s[58:59]              // or to add threads
s_or_b64 s[58:59], s[64:65], s[58:59]              // or to add threads
s_or_b64 s[58:59], s[66:67], s[58:59]              // or to add threads
s_or_b64 s[58:59], s[68:69], s[58:59]              // or to add threads
s_or_b64 s[58:59], s[70:71], s[58:59]              // or to add threads
s_or_b64 s[58:59], s[72:73], s[58:59]              // or to add threads
s_or_b64 s[58:59], s[74:75], s[58:59]              // or to add threads
s_or_b64 s[58:59], s[76:77], s[58:59]              // or to add threads
s_or_b64 s[58:59], s[78:79], s[58:59]              // or to add threads
s_or_b64 s[58:59], s[80:81], s[58:59]              // or to add threads
s_or_b64 s[58:59], s[82:83], s[58:59]              // or to add threads
s_or_b64 s[58:59], s[84:85], s[58:59]              // or to add threads
s_or_b64 s[58:59], s[86:87], s[58:59]              // or to add threads
s_or_b64 s[58:59], s[88:89], s[58:59]              // or to add threads
s_or_b64 s[58:59], s[90:91], s[58:59]              // or to add threads
s_or_b64 s[58:59], s[92:93], s[58:59]              // or to add threads
s_or_b64 s[58:59], s[94:95], s[58:59]              // or to add threads
s_or_b64 s[58:59], s[96:97], s[58:59]              // or to add threads
s_or_b64 s[58:59], s[98:99], s[58:59]              // or to add threads
s_or_b64 s[58:59], s[100:101], s[58:59]            // or to add threads
s_or_saveexec_b64 s[60:61], s[58:59]               // apply combined mask
s_cbranch_execz label_0047                         // if exec is zero skip loop

/* atomic CAS loop */
label_0046:

/* apply updated masks and issue writes again */
s_mov_b64 exec, s[62:63]                           // must try again
v_mov_b32 v73, v72                                 // dataV+1 = tmp (new original C)
v_add_f32 v72, v73, v[vgprValuC+40]                // newC = rC + originalC
_buffer_atomic_cmpswap_b32 v[72:73], v70, s[sgprSrdD:sgprSrdD+3] 0 offen offset:0 glc   // attempt write
s_mov_b64 exec, s[64:65]                           // must try again
v_mov_b32 v75, v74                                 // dataV+1 = tmp (new original C)
v_add_f32 v74, v75, v[vgprValuC+41]                // newC = rC + originalC
_buffer_atomic_cmpswap_b32 v[74:75], v70, s[sgprSrdD:sgprSrdD+3] 0 offen offset:4 glc   // attempt write
	;; [unrolled: 4-line block ×10, first 2 shown]
s_mov_b64 exec, s[82:83]                           // must try again
v_mov_b32 v101, v100                               // dataV+1 = tmp (new original C)
v_add_f32 v100, v101, v[vgprValuC+50]              // newC = rC + originalC
_buffer_atomic_cmpswap_b32 v[100:101], v88, s[sgprSrdD:sgprSrdD+3] 0 offen offset:8 glc   // attempt write
s_mov_b64 exec, s[84:85]                           // must try again
v_mov_b32 v103, v102                               // dataV+1 = tmp (new original C)
v_add_f32 v102, v103, v[vgprValuC+51]              // newC = rC + originalC
_buffer_atomic_cmpswap_b32 v[102:103], v88, s[sgprSrdD:sgprSrdD+3] 0 offen offset:12 glc   // attempt write
	;; [unrolled: 4-line block ×9, first 2 shown]
s_mov_b64 exec, s[100:101]                         // must try again
v_mov_b32 v135, v134                               // dataV+1 = tmp (new original C)
v_add_f32 v134, v135, v[vgprValuC+59]              // newC = rC + originalC
_buffer_atomic_cmpswap_b32 v[134:135], v90, s[sgprSrdD:sgprSrdD+3] 0 offen offset:12 glc   // attempt write
s_waitcnt vmcnt(0)                                 // wait for atomic writes

/* apply masks and check for success */
s_mov_b64 exec, s[62:63]                           // must try again
v_cmp_ne_u32 s[58:59], v72, v73                    // c read during atomic != c read during prior load
s_and_b64 s[62:63], s[58:59], s[62:63]             // inBounds & must try again
s_mov_b64 exec, s[64:65]                           // must try again
v_cmp_ne_u32 s[58:59], v74, v75                    // c read during atomic != c read during prior load
s_and_b64 s[64:65], s[58:59], s[64:65]             // inBounds & must try again
	;; [unrolled: 3-line block ×10, first 2 shown]
s_mov_b64 exec, s[82:83]                           // must try again
v_cmp_ne_u32 s[58:59], v100, v101                  // c read during atomic != c read during prior load
s_and_b64 s[82:83], s[58:59], s[82:83]             // inBounds & must try again
s_mov_b64 exec, s[84:85]                           // must try again
v_cmp_ne_u32 s[58:59], v102, v103                  // c read during atomic != c read during prior load
s_and_b64 s[84:85], s[58:59], s[84:85]             // inBounds & must try again
	;; [unrolled: 3-line block ×9, first 2 shown]
s_mov_b64 exec, s[100:101]                         // must try again
v_cmp_ne_u32 s[58:59], v134, v135                  // c read during atomic != c read during prior load
s_and_b64 s[100:101], s[58:59], s[100:101]         // inBounds & must try again

/* or masks to check for exit */
s_mov_b64 s[58:59], 0x0                            // empty mask
s_or_b64 s[58:59], s[62:63], s[58:59]              // or to add threads
s_or_b64 s[58:59], s[64:65], s[58:59]              // or to add threads
	;; [unrolled: 1-line block ×19, first 2 shown]
s_or_b64 s[58:59], s[100:101], s[58:59]            // or to add threads
s_or_saveexec_b64 s[60:61], s[58:59]               // apply combined mask
s_cbranch_execnz label_0046                        // try again if not complete
label_0047:
s_mov_b64 exec, -1                                 // full mask -> exec
/* optSingleColVgpr=0 optSharedColVgpr=0 optSGPRUsage=None optSrdIncForRow=0 */

/******************************************/
/* Global Write Alpha Batch #3 (d1,d0,vc1,vc0) = */
/*    (1,1,3,0:vw4:vaw:1)                 */
/******************************************/

/* calc coords, apply mask, and issue loads (if necessary) */
/* (d1,vc1,d0,vc0)=(1,3,1,0) */
_v_add_co_u32 v68, vcc, v64, 64                    // coord0.1: coord0 += d0*sg0*VW + vc0
_v_add_lshl_u32 v70, v67, v68, 0x2                 // scaleToBpe: accumulate d0 lower and *= bpe into Cin addr
_buffer_load_b128 v[76:79], v70, s[sgprSrdD:sgprSrdD+3], 0, offen offset:0 // load D (atomic) bpm=16 vaw=1

/* rC *= alpha batchElements=[(1, 1, 3, 0)] */
v_mul_f32 v[vgprValuC+60], s[sgprAlpha], v[vgprValuC+60] // *= alpha
v_mul_f32 v[vgprValuC+61], s[sgprAlpha], v[vgprValuC+61] // *= alpha
	;; [unrolled: 1-line block ×4, first 2 shown]
s_waitcnt vmcnt(0)                                 // wait C (atomic)

/* issue first atomic writes */
v_mov_b32 v73, v76                                 // v_mov for reordering loaded data
v_mov_b32 v75, v77                                 // v_mov for reordering loaded data
	;; [unrolled: 1-line block ×3, first 2 shown]
v_add_f32 v72, v73, v[vgprValuC+60]                // desired value
_buffer_atomic_cmpswap_b32 v[72:73], v70, s[sgprSrdD:sgprSrdD+3] 0 offen offset:0 glc   // attempt write
v_add_f32 v74, v75, v[vgprValuC+61]                // desired value
_buffer_atomic_cmpswap_b32 v[74:75], v70, s[sgprSrdD:sgprSrdD+3] 0 offen offset:4 glc   // attempt write
	;; [unrolled: 2-line block ×4, first 2 shown]
s_waitcnt vmcnt(0)                                 // wait for atomic writes

/* check success of writes, update masks */
v_cmp_ne_u32 s[62:63], v72, v73                    // c read during atomic != c read during prior load
v_cmp_ne_u32 s[64:65], v74, v75                    // c read during atomic != c read during prior load
	;; [unrolled: 1-line block ×4, first 2 shown]

/* or masks to check for exit */
s_mov_b64 s[58:59], 0x0                            // empty mask
s_or_b64 s[58:59], s[62:63], s[58:59]              // or to add threads
s_or_b64 s[58:59], s[64:65], s[58:59]              // or to add threads
	;; [unrolled: 1-line block ×4, first 2 shown]
s_or_saveexec_b64 s[60:61], s[58:59]               // apply combined mask
s_cbranch_execz label_0049                         // if exec is zero skip loop

/* atomic CAS loop */
label_0048:

/* apply updated masks and issue writes again */
s_mov_b64 exec, s[62:63]                           // must try again
v_mov_b32 v73, v72                                 // dataV+1 = tmp (new original C)
v_add_f32 v72, v73, v[vgprValuC+60]                // newC = rC + originalC
_buffer_atomic_cmpswap_b32 v[72:73], v70, s[sgprSrdD:sgprSrdD+3] 0 offen offset:0 glc   // attempt write
s_mov_b64 exec, s[64:65]                           // must try again
v_mov_b32 v75, v74                                 // dataV+1 = tmp (new original C)
v_add_f32 v74, v75, v[vgprValuC+61]                // newC = rC + originalC
_buffer_atomic_cmpswap_b32 v[74:75], v70, s[sgprSrdD:sgprSrdD+3] 0 offen offset:4 glc   // attempt write
	;; [unrolled: 4-line block ×4, first 2 shown]
s_waitcnt vmcnt(0)                                 // wait for atomic writes

/* apply masks and check for success */
s_mov_b64 exec, s[62:63]                           // must try again
v_cmp_ne_u32 s[58:59], v72, v73                    // c read during atomic != c read during prior load
s_and_b64 s[62:63], s[58:59], s[62:63]             // inBounds & must try again
s_mov_b64 exec, s[64:65]                           // must try again
v_cmp_ne_u32 s[58:59], v74, v75                    // c read during atomic != c read during prior load
s_and_b64 s[64:65], s[58:59], s[64:65]             // inBounds & must try again
	;; [unrolled: 3-line block ×4, first 2 shown]

/* or masks to check for exit */
s_mov_b64 s[58:59], 0x0                            // empty mask
s_or_b64 s[58:59], s[62:63], s[58:59]              // or to add threads
s_or_b64 s[58:59], s[64:65], s[58:59]              // or to add threads
	;; [unrolled: 1-line block ×4, first 2 shown]
s_or_saveexec_b64 s[60:61], s[58:59]               // apply combined mask
s_cbranch_execnz label_0048                        // try again if not complete
label_0049:
s_mov_b64 exec, -1                                 // full mask -> exec
s_branch label_GW_End_37                           // jump to end
GW_B0_E1_35:

/* edge=1, allocate 44 sgpr. perBatchTmpS=4 perBatchMaskS=0 perElementMaskS=2 elementsPerBatch=20 */
/* optSingleColVgpr=0 optSharedColVgpr=0 optSGPRUsage=None optSrdIncForRow=0 */

/******************************************/
/* Global Write Alpha Edge Batch #0 (d1,d0,vc1,vc0) = */
/*    (0,0,0,0:vw1:vaw:1); (0,0,0,1:vw1:vaw:1); (0,0,0,2:vw1:vaw:1); (0,0,0,3:vw1:vaw:1); (0,1,0,0:vw1:vaw:1); (0,1,0,1:vw1:vaw:1); (0,1,0,2:vw1:vaw:1); (0,1,0,3:vw1:vaw:1); (0,0,1,0:vw1:vaw:1); (0,0,1,1:vw1:vaw:1); (0,0,1,2:vw1:vaw:1); (0,0,1,3:vw1:vaw:1); (0,1,1,0:vw1:vaw:1); (0,1,1,1:vw1:vaw:1); (0,1,1,2:vw1:vaw:1); (0,1,1,3:vw1:vaw:1); (0,0,2,0:vw1:vaw:1); (0,0,2,1:vw1:vaw:1); (0,0,2,2:vw1:vaw:1); (0,0,2,3:vw1:vaw:1) */
/******************************************/

/* calc coords, apply mask, and issue loads (if necessary) */
/* (d1,vc1,d0,vc0)=(0,0,0,0) */
v_cmp_lt_u32 s[58:59], v64, s[sgprSizeI]           // coord0 < size0
v_cmp_lt_u32 s[62:63], v65, s[sgprSizeJ]           // coord1 < size1
s_and_b64 s[62:63], s[58:59], s[62:63]             // in0 && in1
_v_add_lshl_u32 v70, v67, v64, 0x2                 // scaleToBpe: accumulate d0 lower and *= bpe into Cin addr
v_cndmask_b32 v70, -1, v70, s[62:63]               // LDD clip if OOB. offset
_buffer_load_b32 v73, v70, s[sgprSrdD:sgprSrdD+3], 0, offen offset:0 // load D (atomic) bpm=4 vaw=1
/* (d1,vc1,d0,vc0)=(0,0,0,1) */
_v_add_co_u32 v68, vcc, v64, 1                     // coord0.1: coord0 += d0*sg0*VW + vc0
v_cmp_lt_u32 s[58:59], v68, s[sgprSizeI]           // coord0 < size0
v_cmp_lt_u32 s[64:65], v65, s[sgprSizeJ]           // coord1 < size1
s_and_b64 s[64:65], s[58:59], s[64:65]             // in0 && in1
_v_add_lshl_u32 v71, v67, v68, 0x2                 // scaleToBpe: accumulate d0 lower and *= bpe into Cin addr
v_cndmask_b32 v71, -1, v71, s[64:65]               // LDD clip if OOB. offset
_buffer_load_b32 v75, v71, s[sgprSrdD:sgprSrdD+3], 0, offen offset:0 // load D (atomic) bpm=4 vaw=1
/* (d1,vc1,d0,vc0)=(0,0,0,2) */
_v_add_co_u32 v68, vcc, v64, 2                     // coord0.1: coord0 += d0*sg0*VW + vc0
	;; [unrolled: 8-line block ×3, first 2 shown]
v_cmp_lt_u32 s[58:59], v68, s[sgprSizeI]           // coord0 < size0
v_cmp_lt_u32 s[68:69], v65, s[sgprSizeJ]           // coord1 < size1
s_and_b64 s[68:69], s[58:59], s[68:69]             // in0 && in1
_v_add_lshl_u32 v77, v67, v68, 0x2                 // scaleToBpe: accumulate d0 lower and *= bpe into Cin addr
v_cndmask_b32 v77, -1, v77, s[68:69]               // LDD clip if OOB. offset
_buffer_load_b32 v81, v77, s[sgprSrdD:sgprSrdD+3], 0, offen offset:0 // load D (atomic) bpm=4 vaw=1
/* (d1,vc1,d0,vc0)=(0,0,1,0) */
_v_add_co_u32 v68, vcc, v64, 64                    // coord0.1: coord0 += d0*sg0*VW + vc0
v_cmp_lt_u32 s[58:59], v68, s[sgprSizeI]           // coord0 < size0
v_cmp_lt_u32 s[70:71], v65, s[sgprSizeJ]           // coord1 < size1
s_and_b64 s[70:71], s[58:59], s[70:71]             // in0 && in1
_v_add_lshl_u32 v82, v67, v68, 0x2                 // scaleToBpe: accumulate d0 lower and *= bpe into Cin addr
v_cndmask_b32 v82, -1, v82, s[70:71]               // LDD clip if OOB. offset
_buffer_load_b32 v85, v82, s[sgprSrdD:sgprSrdD+3], 0, offen offset:0 // load D (atomic) bpm=4 vaw=1
/* (d1,vc1,d0,vc0)=(0,0,1,1) */
s_mov_b32 s58, 65                                  // coordOffset0 d0=1 vc0=1
_v_add_co_u32 v68, vcc, v64, s58                   // coord0.2: coord0 += d0*sg0*VW + vc0
v_cmp_lt_u32 s[58:59], v68, s[sgprSizeI]           // coord0 < size0
v_cmp_lt_u32 s[72:73], v65, s[sgprSizeJ]           // coord1 < size1
s_and_b64 s[72:73], s[58:59], s[72:73]             // in0 && in1
_v_add_lshl_u32 v83, v67, v68, 0x2                 // scaleToBpe: accumulate d0 lower and *= bpe into Cin addr
v_cndmask_b32 v83, -1, v83, s[72:73]               // LDD clip if OOB. offset
_buffer_load_b32 v87, v83, s[sgprSrdD:sgprSrdD+3], 0, offen offset:0 // load D (atomic) bpm=4 vaw=1
/* (d1,vc1,d0,vc0)=(0,0,1,2) */
s_mov_b32 s58, 66                                  // coordOffset0 d0=1 vc0=2
_v_add_co_u32 v68, vcc, v64, s58                   // coord0.2: coord0 += d0*sg0*VW + vc0
	;; [unrolled: 9-line block ×3, first 2 shown]
v_cmp_lt_u32 s[58:59], v68, s[sgprSizeI]           // coord0 < size0
v_cmp_lt_u32 s[76:77], v65, s[sgprSizeJ]           // coord1 < size1
s_and_b64 s[76:77], s[58:59], s[76:77]             // in0 && in1
_v_add_lshl_u32 v89, v67, v68, 0x2                 // scaleToBpe: accumulate d0 lower and *= bpe into Cin addr
v_cndmask_b32 v89, -1, v89, s[76:77]               // LDD clip if OOB. offset
_buffer_load_b32 v93, v89, s[sgprSrdD:sgprSrdD+3], 0, offen offset:0 // load D (atomic) bpm=4 vaw=1
/* (d1,vc1,d0,vc0)=(0,1,0,0) */
_v_add_co_u32 v65, vcc, v65, 1                     // coord1.1: coord1Vgpr += d1*sg1*VW + vc1

/* Fix for UseInitialStridesCD, emitAddressSetupCode */
_v_add_u32 v66, v66, s[sgprStrideC1J]              // ROWINC- Move cinRowPtr to next row
_v_add_u32 v67, v67, s[sgprStrideD1J]              // Move coutRowPtr to next row
v_cmp_lt_u32 s[58:59], v64, s[sgprSizeI]           // coord0 < size0
v_cmp_lt_u32 s[78:79], v65, s[sgprSizeJ]           // coord1 < size1
s_and_b64 s[78:79], s[58:59], s[78:79]             // in0 && in1
_v_add_lshl_u32 v94, v67, v64, 0x2                 // scaleToBpe: accumulate d0 lower and *= bpe into Cin addr
v_cndmask_b32 v94, -1, v94, s[78:79]               // LDD clip if OOB. offset
_buffer_load_b32 v97, v94, s[sgprSrdD:sgprSrdD+3], 0, offen offset:0 // load D (atomic) bpm=4 vaw=1
/* (d1,vc1,d0,vc0)=(0,1,0,1) */
_v_add_co_u32 v68, vcc, v64, 1                     // coord0.1: coord0 += d0*sg0*VW + vc0
v_cmp_lt_u32 s[58:59], v68, s[sgprSizeI]           // coord0 < size0
v_cmp_lt_u32 s[80:81], v65, s[sgprSizeJ]           // coord1 < size1
s_and_b64 s[80:81], s[58:59], s[80:81]             // in0 && in1
_v_add_lshl_u32 v95, v67, v68, 0x2                 // scaleToBpe: accumulate d0 lower and *= bpe into Cin addr
v_cndmask_b32 v95, -1, v95, s[80:81]               // LDD clip if OOB. offset
_buffer_load_b32 v99, v95, s[sgprSrdD:sgprSrdD+3], 0, offen offset:0 // load D (atomic) bpm=4 vaw=1
/* (d1,vc1,d0,vc0)=(0,1,0,2) */
_v_add_co_u32 v68, vcc, v64, 2                     // coord0.1: coord0 += d0*sg0*VW + vc0
v_cmp_lt_u32 s[58:59], v68, s[sgprSizeI]           // coord0 < size0
v_cmp_lt_u32 s[82:83], v65, s[sgprSizeJ]           // coord1 < size1
s_and_b64 s[82:83], s[58:59], s[82:83]             // in0 && in1
_v_add_lshl_u32 v100, v67, v68, 0x2                // scaleToBpe: accumulate d0 lower and *= bpe into Cin addr
v_cndmask_b32 v100, -1, v100, s[82:83]             // LDD clip if OOB. offset
_buffer_load_b32 v103, v100, s[sgprSrdD:sgprSrdD+3], 0, offen offset:0 // load D (atomic) bpm=4 vaw=1
/* (d1,vc1,d0,vc0)=(0,1,0,3) */
_v_add_co_u32 v68, vcc, v64, 3                     // coord0.1: coord0 += d0*sg0*VW + vc0
v_cmp_lt_u32 s[58:59], v68, s[sgprSizeI]           // coord0 < size0
v_cmp_lt_u32 s[84:85], v65, s[sgprSizeJ]           // coord1 < size1
s_and_b64 s[84:85], s[58:59], s[84:85]             // in0 && in1
_v_add_lshl_u32 v101, v67, v68, 0x2                // scaleToBpe: accumulate d0 lower and *= bpe into Cin addr
v_cndmask_b32 v101, -1, v101, s[84:85]             // LDD clip if OOB. offset
_buffer_load_b32 v105, v101, s[sgprSrdD:sgprSrdD+3], 0, offen offset:0 // load D (atomic) bpm=4 vaw=1
/* (d1,vc1,d0,vc0)=(0,1,1,0) */
_v_add_co_u32 v68, vcc, v64, 64                    // coord0.1: coord0 += d0*sg0*VW + vc0
v_cmp_lt_u32 s[58:59], v68, s[sgprSizeI]           // coord0 < size0
v_cmp_lt_u32 s[86:87], v65, s[sgprSizeJ]           // coord1 < size1
s_and_b64 s[86:87], s[58:59], s[86:87]             // in0 && in1
_v_add_lshl_u32 v106, v67, v68, 0x2                // scaleToBpe: accumulate d0 lower and *= bpe into Cin addr
v_cndmask_b32 v106, -1, v106, s[86:87]             // LDD clip if OOB. offset
_buffer_load_b32 v109, v106, s[sgprSrdD:sgprSrdD+3], 0, offen offset:0 // load D (atomic) bpm=4 vaw=1
/* (d1,vc1,d0,vc0)=(0,1,1,1) */
s_mov_b32 s58, 65                                  // coordOffset0 d0=1 vc0=1
_v_add_co_u32 v68, vcc, v64, s58                   // coord0.2: coord0 += d0*sg0*VW + vc0
v_cmp_lt_u32 s[58:59], v68, s[sgprSizeI]           // coord0 < size0
v_cmp_lt_u32 s[88:89], v65, s[sgprSizeJ]           // coord1 < size1
s_and_b64 s[88:89], s[58:59], s[88:89]             // in0 && in1
_v_add_lshl_u32 v107, v67, v68, 0x2                // scaleToBpe: accumulate d0 lower and *= bpe into Cin addr
v_cndmask_b32 v107, -1, v107, s[88:89]             // LDD clip if OOB. offset
_buffer_load_b32 v111, v107, s[sgprSrdD:sgprSrdD+3], 0, offen offset:0 // load D (atomic) bpm=4 vaw=1
/* (d1,vc1,d0,vc0)=(0,1,1,2) */
s_mov_b32 s58, 66                                  // coordOffset0 d0=1 vc0=2
_v_add_co_u32 v68, vcc, v64, s58                   // coord0.2: coord0 += d0*sg0*VW + vc0
	;; [unrolled: 9-line block ×3, first 2 shown]
v_cmp_lt_u32 s[58:59], v68, s[sgprSizeI]           // coord0 < size0
v_cmp_lt_u32 s[92:93], v65, s[sgprSizeJ]           // coord1 < size1
s_and_b64 s[92:93], s[58:59], s[92:93]             // in0 && in1
_v_add_lshl_u32 v113, v67, v68, 0x2                // scaleToBpe: accumulate d0 lower and *= bpe into Cin addr
v_cndmask_b32 v113, -1, v113, s[92:93]             // LDD clip if OOB. offset
_buffer_load_b32 v117, v113, s[sgprSrdD:sgprSrdD+3], 0, offen offset:0 // load D (atomic) bpm=4 vaw=1
/* (d1,vc1,d0,vc0)=(0,2,0,0) */
_v_add_co_u32 v65, vcc, v65, 1                     // coord1.1: coord1Vgpr += d1*sg1*VW + vc1

/* Fix for UseInitialStridesCD, emitAddressSetupCode */
_v_add_u32 v66, v66, s[sgprStrideC1J]              // ROWINC- Move cinRowPtr to next row
_v_add_u32 v67, v67, s[sgprStrideD1J]              // Move coutRowPtr to next row
v_cmp_lt_u32 s[58:59], v64, s[sgprSizeI]           // coord0 < size0
v_cmp_lt_u32 s[94:95], v65, s[sgprSizeJ]           // coord1 < size1
s_and_b64 s[94:95], s[58:59], s[94:95]             // in0 && in1
_v_add_lshl_u32 v121, v67, v64, 0x2                // scaleToBpe: accumulate d0 lower and *= bpe into Cin addr
v_cndmask_b32 v121, -1, v121, s[94:95]             // LDD clip if OOB. offset
_buffer_load_b32 v123, v121, s[sgprSrdD:sgprSrdD+3], 0, offen offset:0 // load D (atomic) bpm=4 vaw=1
/* (d1,vc1,d0,vc0)=(0,2,0,1) */
_v_add_co_u32 v68, vcc, v64, 1                     // coord0.1: coord0 += d0*sg0*VW + vc0
v_cmp_lt_u32 s[58:59], v68, s[sgprSizeI]           // coord0 < size0
v_cmp_lt_u32 s[96:97], v65, s[sgprSizeJ]           // coord1 < size1
s_and_b64 s[96:97], s[58:59], s[96:97]             // in0 && in1
_v_add_lshl_u32 v124, v67, v68, 0x2                // scaleToBpe: accumulate d0 lower and *= bpe into Cin addr
v_cndmask_b32 v124, -1, v124, s[96:97]             // LDD clip if OOB. offset
_buffer_load_b32 v127, v124, s[sgprSrdD:sgprSrdD+3], 0, offen offset:0 // load D (atomic) bpm=4 vaw=1
/* (d1,vc1,d0,vc0)=(0,2,0,2) */
_v_add_co_u32 v68, vcc, v64, 2                     // coord0.1: coord0 += d0*sg0*VW + vc0
	;; [unrolled: 8-line block ×3, first 2 shown]
v_cmp_lt_u32 s[58:59], v68, s[sgprSizeI]           // coord0 < size0
v_cmp_lt_u32 s[100:101], v65, s[sgprSizeJ]         // coord1 < size1
s_and_b64 s[100:101], s[58:59], s[100:101]         // in0 && in1
_v_add_lshl_u32 v130, v67, v68, 0x2                // scaleToBpe: accumulate d0 lower and *= bpe into Cin addr
v_cndmask_b32 v130, -1, v130, s[100:101]           // LDD clip if OOB. offset
_buffer_load_b32 v133, v130, s[sgprSrdD:sgprSrdD+3], 0, offen offset:0 // load D (atomic) bpm=4 vaw=1

/* rC *= alpha batchElements=[(0, 0, 0, 0), (0, 0, 0, 1), (0, 0, 0, 2), (0, 0, 0, 3), (0, 1, 0, 0), (0, 1, 0, 1), (0, 1, 0, 2), (0, 1, 0, 3), (0, 0, 1, 0), (0, 0, 1, 1), (0, 0, 1, 2), (0, 0, 1, 3), (0, 1, 1, 0), (0, 1, 1, 1), (0, 1, 1, 2), (0, 1, 1, 3), (0, 0, 2, 0), (0, 0, 2, 1), (0, 0, 2, 2), (0, 0, 2, 3)] */
v_mul_f32 v[vgprValuC+0], s[sgprAlpha], v[vgprValuC+0] // *= alpha
v_mul_f32 v[vgprValuC+1], s[sgprAlpha], v[vgprValuC+1] // *= alpha
	;; [unrolled: 1-line block ×20, first 2 shown]
s_waitcnt vmcnt(0)                                 // wait C (atomic)

/* issue first atomic writes */
s_mov_b64 exec, s[62:63]                           // sgprs -> exec (before atomic)
v_add_f32 v72, v73, v[vgprValuC+0]                 // desired value
_buffer_atomic_cmpswap_b32 v[72:73], v70, s[sgprSrdD:sgprSrdD+3] 0 offen offset:0 glc   // attempt write
s_mov_b64 exec, s[64:65]                           // sgprs -> exec (before atomic)
v_add_f32 v74, v75, v[vgprValuC+1]                 // desired value
_buffer_atomic_cmpswap_b32 v[74:75], v71, s[sgprSrdD:sgprSrdD+3] 0 offen offset:0 glc   // attempt write
	;; [unrolled: 3-line block ×10, first 2 shown]
s_mov_b64 exec, s[82:83]                           // sgprs -> exec (before atomic)
v_add_f32 v102, v103, v[vgprValuC+10]              // desired value
_buffer_atomic_cmpswap_b32 v[102:103], v100, s[sgprSrdD:sgprSrdD+3] 0 offen offset:0 glc   // attempt write
s_mov_b64 exec, s[84:85]                           // sgprs -> exec (before atomic)
v_add_f32 v104, v105, v[vgprValuC+11]              // desired value
_buffer_atomic_cmpswap_b32 v[104:105], v101, s[sgprSrdD:sgprSrdD+3] 0 offen offset:0 glc   // attempt write
	;; [unrolled: 3-line block ×9, first 2 shown]
s_mov_b64 exec, s[100:101]                         // sgprs -> exec (before atomic)
v_add_f32 v132, v133, v[vgprValuC+19]              // desired value
_buffer_atomic_cmpswap_b32 v[132:133], v130, s[sgprSrdD:sgprSrdD+3] 0 offen offset:0 glc   // attempt write
s_waitcnt vmcnt(0)                                 // wait for atomic writes

/* check success of writes, update masks */
s_mov_b64 exec, s[62:63]                           // sgprs -> exec
v_cmp_ne_u32 s[58:59], v72, v73                    // c read during atomic != c read during prior load
s_and_b64 s[62:63], s[58:59], s[62:63]             // inBounds & must try again
s_mov_b64 exec, s[64:65]                           // sgprs -> exec
v_cmp_ne_u32 s[58:59], v74, v75                    // c read during atomic != c read during prior load
s_and_b64 s[64:65], s[58:59], s[64:65]             // inBounds & must try again
	;; [unrolled: 3-line block ×10, first 2 shown]
s_mov_b64 exec, s[82:83]                           // sgprs -> exec
v_cmp_ne_u32 s[58:59], v102, v103                  // c read during atomic != c read during prior load
s_and_b64 s[82:83], s[58:59], s[82:83]             // inBounds & must try again
s_mov_b64 exec, s[84:85]                           // sgprs -> exec
v_cmp_ne_u32 s[58:59], v104, v105                  // c read during atomic != c read during prior load
s_and_b64 s[84:85], s[58:59], s[84:85]             // inBounds & must try again
	;; [unrolled: 3-line block ×9, first 2 shown]
s_mov_b64 exec, s[100:101]                         // sgprs -> exec
v_cmp_ne_u32 s[58:59], v132, v133                  // c read during atomic != c read during prior load
s_and_b64 s[100:101], s[58:59], s[100:101]         // inBounds & must try again

/* or masks to check for exit */
s_mov_b64 s[58:59], 0x0                            // empty mask
s_or_b64 s[58:59], s[62:63], s[58:59]              // or to add threads
s_or_b64 s[58:59], s[64:65], s[58:59]              // or to add threads
s_or_b64 s[58:59], s[66:67], s[58:59]              // or to add threads
s_or_b64 s[58:59], s[68:69], s[58:59]              // or to add threads
s_or_b64 s[58:59], s[70:71], s[58:59]              // or to add threads
s_or_b64 s[58:59], s[72:73], s[58:59]              // or to add threads
s_or_b64 s[58:59], s[74:75], s[58:59]              // or to add threads
s_or_b64 s[58:59], s[76:77], s[58:59]              // or to add threads
s_or_b64 s[58:59], s[78:79], s[58:59]              // or to add threads
s_or_b64 s[58:59], s[80:81], s[58:59]              // or to add threads
s_or_b64 s[58:59], s[82:83], s[58:59]              // or to add threads
s_or_b64 s[58:59], s[84:85], s[58:59]              // or to add threads
s_or_b64 s[58:59], s[86:87], s[58:59]              // or to add threads
s_or_b64 s[58:59], s[88:89], s[58:59]              // or to add threads
s_or_b64 s[58:59], s[90:91], s[58:59]              // or to add threads
s_or_b64 s[58:59], s[92:93], s[58:59]              // or to add threads
s_or_b64 s[58:59], s[94:95], s[58:59]              // or to add threads
s_or_b64 s[58:59], s[96:97], s[58:59]              // or to add threads
s_or_b64 s[58:59], s[98:99], s[58:59]              // or to add threads
s_or_b64 s[58:59], s[100:101], s[58:59]            // or to add threads
s_or_saveexec_b64 s[60:61], s[58:59]               // apply combined mask
s_cbranch_execz label_0051                         // if exec is zero skip loop

/* atomic CAS loop */
label_0050:

/* apply updated masks and issue writes again */
s_mov_b64 exec, s[62:63]                           // must try again
v_mov_b32 v73, v72                                 // dataV+1 = tmp (new original C)
v_add_f32 v72, v73, v[vgprValuC+0]                 // newC = rC + originalC
_buffer_atomic_cmpswap_b32 v[72:73], v70, s[sgprSrdD:sgprSrdD+3] 0 offen offset:0 glc   // attempt write
s_mov_b64 exec, s[64:65]                           // must try again
v_mov_b32 v75, v74                                 // dataV+1 = tmp (new original C)
v_add_f32 v74, v75, v[vgprValuC+1]                 // newC = rC + originalC
_buffer_atomic_cmpswap_b32 v[74:75], v71, s[sgprSrdD:sgprSrdD+3] 0 offen offset:0 glc   // attempt write
	;; [unrolled: 4-line block ×10, first 2 shown]
s_mov_b64 exec, s[82:83]                           // must try again
v_mov_b32 v103, v102                               // dataV+1 = tmp (new original C)
v_add_f32 v102, v103, v[vgprValuC+10]              // newC = rC + originalC
_buffer_atomic_cmpswap_b32 v[102:103], v100, s[sgprSrdD:sgprSrdD+3] 0 offen offset:0 glc   // attempt write
s_mov_b64 exec, s[84:85]                           // must try again
v_mov_b32 v105, v104                               // dataV+1 = tmp (new original C)
v_add_f32 v104, v105, v[vgprValuC+11]              // newC = rC + originalC
_buffer_atomic_cmpswap_b32 v[104:105], v101, s[sgprSrdD:sgprSrdD+3] 0 offen offset:0 glc   // attempt write
	;; [unrolled: 4-line block ×9, first 2 shown]
s_mov_b64 exec, s[100:101]                         // must try again
v_mov_b32 v133, v132                               // dataV+1 = tmp (new original C)
v_add_f32 v132, v133, v[vgprValuC+19]              // newC = rC + originalC
_buffer_atomic_cmpswap_b32 v[132:133], v130, s[sgprSrdD:sgprSrdD+3] 0 offen offset:0 glc   // attempt write
s_waitcnt vmcnt(0)                                 // wait for atomic writes

/* apply masks and check for success */
s_mov_b64 exec, s[62:63]                           // must try again
v_cmp_ne_u32 s[58:59], v72, v73                    // c read during atomic != c read during prior load
s_and_b64 s[62:63], s[58:59], s[62:63]             // inBounds & must try again
s_mov_b64 exec, s[64:65]                           // must try again
v_cmp_ne_u32 s[58:59], v74, v75                    // c read during atomic != c read during prior load
s_and_b64 s[64:65], s[58:59], s[64:65]             // inBounds & must try again
s_mov_b64 exec, s[66:67]                           // must try again
v_cmp_ne_u32 s[58:59], v78, v79                    // c read during atomic != c read during prior load
s_and_b64 s[66:67], s[58:59], s[66:67]             // inBounds & must try again
s_mov_b64 exec, s[68:69]                           // must try again
v_cmp_ne_u32 s[58:59], v80, v81                    // c read during atomic != c read during prior load
s_and_b64 s[68:69], s[58:59], s[68:69]             // inBounds & must try again
s_mov_b64 exec, s[70:71]                           // must try again
v_cmp_ne_u32 s[58:59], v84, v85                    // c read during atomic != c read during prior load
s_and_b64 s[70:71], s[58:59], s[70:71]             // inBounds & must try again
s_mov_b64 exec, s[72:73]                           // must try again
v_cmp_ne_u32 s[58:59], v86, v87                    // c read during atomic != c read during prior load
s_and_b64 s[72:73], s[58:59], s[72:73]             // inBounds & must try again
s_mov_b64 exec, s[74:75]                           // must try again
v_cmp_ne_u32 s[58:59], v90, v91                    // c read during atomic != c read during prior load
s_and_b64 s[74:75], s[58:59], s[74:75]             // inBounds & must try again
s_mov_b64 exec, s[76:77]                           // must try again
v_cmp_ne_u32 s[58:59], v92, v93                    // c read during atomic != c read during prior load
s_and_b64 s[76:77], s[58:59], s[76:77]             // inBounds & must try again
s_mov_b64 exec, s[78:79]                           // must try again
v_cmp_ne_u32 s[58:59], v96, v97                    // c read during atomic != c read during prior load
s_and_b64 s[78:79], s[58:59], s[78:79]             // inBounds & must try again
s_mov_b64 exec, s[80:81]                           // must try again
v_cmp_ne_u32 s[58:59], v98, v99                    // c read during atomic != c read during prior load
s_and_b64 s[80:81], s[58:59], s[80:81]             // inBounds & must try again
s_mov_b64 exec, s[82:83]                           // must try again
v_cmp_ne_u32 s[58:59], v102, v103                  // c read during atomic != c read during prior load
s_and_b64 s[82:83], s[58:59], s[82:83]             // inBounds & must try again
s_mov_b64 exec, s[84:85]                           // must try again
v_cmp_ne_u32 s[58:59], v104, v105                  // c read during atomic != c read during prior load
s_and_b64 s[84:85], s[58:59], s[84:85]             // inBounds & must try again
	;; [unrolled: 3-line block ×9, first 2 shown]
s_mov_b64 exec, s[100:101]                         // must try again
v_cmp_ne_u32 s[58:59], v132, v133                  // c read during atomic != c read during prior load
s_and_b64 s[100:101], s[58:59], s[100:101]         // inBounds & must try again

/* or masks to check for exit */
s_mov_b64 s[58:59], 0x0                            // empty mask
s_or_b64 s[58:59], s[62:63], s[58:59]              // or to add threads
s_or_b64 s[58:59], s[64:65], s[58:59]              // or to add threads
	;; [unrolled: 1-line block ×19, first 2 shown]
s_or_b64 s[58:59], s[100:101], s[58:59]            // or to add threads
s_or_saveexec_b64 s[60:61], s[58:59]               // apply combined mask
s_cbranch_execnz label_0050                        // try again if not complete
label_0051:
s_mov_b64 exec, -1                                 // full mask -> exec
/* optSingleColVgpr=0 optSharedColVgpr=0 optSGPRUsage=None optSrdIncForRow=0 */

/******************************************/
/* Global Write Alpha Edge Batch #1 (d1,d0,vc1,vc0) = */
/*    (0,1,2,0:vw1:vaw:1); (0,1,2,1:vw1:vaw:1); (0,1,2,2:vw1:vaw:1); (0,1,2,3:vw1:vaw:1); (0,0,3,0:vw1:vaw:1); (0,0,3,1:vw1:vaw:1); (0,0,3,2:vw1:vaw:1); (0,0,3,3:vw1:vaw:1); (0,1,3,0:vw1:vaw:1); (0,1,3,1:vw1:vaw:1); (0,1,3,2:vw1:vaw:1); (0,1,3,3:vw1:vaw:1); (1,0,0,0:vw1:vaw:1); (1,0,0,1:vw1:vaw:1); (1,0,0,2:vw1:vaw:1); (1,0,0,3:vw1:vaw:1); (1,1,0,0:vw1:vaw:1); (1,1,0,1:vw1:vaw:1); (1,1,0,2:vw1:vaw:1); (1,1,0,3:vw1:vaw:1) */
/******************************************/

/* calc coords, apply mask, and issue loads (if necessary) */
/* (d1,vc1,d0,vc0)=(0,2,1,0) */
_v_add_co_u32 v68, vcc, v64, 64                    // coord0.1: coord0 += d0*sg0*VW + vc0
v_cmp_lt_u32 s[58:59], v68, s[sgprSizeI]           // coord0 < size0
v_cmp_lt_u32 s[62:63], v65, s[sgprSizeJ]           // coord1 < size1
s_and_b64 s[62:63], s[58:59], s[62:63]             // in0 && in1
_v_add_lshl_u32 v70, v67, v68, 0x2                 // scaleToBpe: accumulate d0 lower and *= bpe into Cin addr
v_cndmask_b32 v70, -1, v70, s[62:63]               // LDD clip if OOB. offset
_buffer_load_b32 v73, v70, s[sgprSrdD:sgprSrdD+3], 0, offen offset:0 // load D (atomic) bpm=4 vaw=1
/* (d1,vc1,d0,vc0)=(0,2,1,1) */
s_mov_b32 s58, 65                                  // coordOffset0 d0=1 vc0=1
_v_add_co_u32 v68, vcc, v64, s58                   // coord0.2: coord0 += d0*sg0*VW + vc0
v_cmp_lt_u32 s[58:59], v68, s[sgprSizeI]           // coord0 < size0
v_cmp_lt_u32 s[64:65], v65, s[sgprSizeJ]           // coord1 < size1
s_and_b64 s[64:65], s[58:59], s[64:65]             // in0 && in1
_v_add_lshl_u32 v71, v67, v68, 0x2                 // scaleToBpe: accumulate d0 lower and *= bpe into Cin addr
v_cndmask_b32 v71, -1, v71, s[64:65]               // LDD clip if OOB. offset
_buffer_load_b32 v75, v71, s[sgprSrdD:sgprSrdD+3], 0, offen offset:0 // load D (atomic) bpm=4 vaw=1
/* (d1,vc1,d0,vc0)=(0,2,1,2) */
s_mov_b32 s58, 66                                  // coordOffset0 d0=1 vc0=2
_v_add_co_u32 v68, vcc, v64, s58                   // coord0.2: coord0 += d0*sg0*VW + vc0
	;; [unrolled: 9-line block ×3, first 2 shown]
v_cmp_lt_u32 s[58:59], v68, s[sgprSizeI]           // coord0 < size0
v_cmp_lt_u32 s[68:69], v65, s[sgprSizeJ]           // coord1 < size1
s_and_b64 s[68:69], s[58:59], s[68:69]             // in0 && in1
_v_add_lshl_u32 v77, v67, v68, 0x2                 // scaleToBpe: accumulate d0 lower and *= bpe into Cin addr
v_cndmask_b32 v77, -1, v77, s[68:69]               // LDD clip if OOB. offset
_buffer_load_b32 v81, v77, s[sgprSrdD:sgprSrdD+3], 0, offen offset:0 // load D (atomic) bpm=4 vaw=1
/* (d1,vc1,d0,vc0)=(0,3,0,0) */
_v_add_co_u32 v65, vcc, v65, 1                     // coord1.1: coord1Vgpr += d1*sg1*VW + vc1

/* Fix for UseInitialStridesCD, emitAddressSetupCode */
_v_add_u32 v66, v66, s[sgprStrideC1J]              // ROWINC- Move cinRowPtr to next row
_v_add_u32 v67, v67, s[sgprStrideD1J]              // Move coutRowPtr to next row
v_cmp_lt_u32 s[58:59], v64, s[sgprSizeI]           // coord0 < size0
v_cmp_lt_u32 s[70:71], v65, s[sgprSizeJ]           // coord1 < size1
s_and_b64 s[70:71], s[58:59], s[70:71]             // in0 && in1
_v_add_lshl_u32 v82, v67, v64, 0x2                 // scaleToBpe: accumulate d0 lower and *= bpe into Cin addr
v_cndmask_b32 v82, -1, v82, s[70:71]               // LDD clip if OOB. offset
_buffer_load_b32 v85, v82, s[sgprSrdD:sgprSrdD+3], 0, offen offset:0 // load D (atomic) bpm=4 vaw=1
/* (d1,vc1,d0,vc0)=(0,3,0,1) */
_v_add_co_u32 v68, vcc, v64, 1                     // coord0.1: coord0 += d0*sg0*VW + vc0
v_cmp_lt_u32 s[58:59], v68, s[sgprSizeI]           // coord0 < size0
v_cmp_lt_u32 s[72:73], v65, s[sgprSizeJ]           // coord1 < size1
s_and_b64 s[72:73], s[58:59], s[72:73]             // in0 && in1
_v_add_lshl_u32 v83, v67, v68, 0x2                 // scaleToBpe: accumulate d0 lower and *= bpe into Cin addr
v_cndmask_b32 v83, -1, v83, s[72:73]               // LDD clip if OOB. offset
_buffer_load_b32 v87, v83, s[sgprSrdD:sgprSrdD+3], 0, offen offset:0 // load D (atomic) bpm=4 vaw=1
/* (d1,vc1,d0,vc0)=(0,3,0,2) */
_v_add_co_u32 v68, vcc, v64, 2                     // coord0.1: coord0 += d0*sg0*VW + vc0
	;; [unrolled: 8-line block ×3, first 2 shown]
v_cmp_lt_u32 s[58:59], v68, s[sgprSizeI]           // coord0 < size0
v_cmp_lt_u32 s[76:77], v65, s[sgprSizeJ]           // coord1 < size1
s_and_b64 s[76:77], s[58:59], s[76:77]             // in0 && in1
_v_add_lshl_u32 v89, v67, v68, 0x2                 // scaleToBpe: accumulate d0 lower and *= bpe into Cin addr
v_cndmask_b32 v89, -1, v89, s[76:77]               // LDD clip if OOB. offset
_buffer_load_b32 v93, v89, s[sgprSrdD:sgprSrdD+3], 0, offen offset:0 // load D (atomic) bpm=4 vaw=1
/* (d1,vc1,d0,vc0)=(0,3,1,0) */
_v_add_co_u32 v68, vcc, v64, 64                    // coord0.1: coord0 += d0*sg0*VW + vc0
v_cmp_lt_u32 s[58:59], v68, s[sgprSizeI]           // coord0 < size0
v_cmp_lt_u32 s[78:79], v65, s[sgprSizeJ]           // coord1 < size1
s_and_b64 s[78:79], s[58:59], s[78:79]             // in0 && in1
_v_add_lshl_u32 v94, v67, v68, 0x2                 // scaleToBpe: accumulate d0 lower and *= bpe into Cin addr
v_cndmask_b32 v94, -1, v94, s[78:79]               // LDD clip if OOB. offset
_buffer_load_b32 v97, v94, s[sgprSrdD:sgprSrdD+3], 0, offen offset:0 // load D (atomic) bpm=4 vaw=1
/* (d1,vc1,d0,vc0)=(0,3,1,1) */
s_mov_b32 s58, 65                                  // coordOffset0 d0=1 vc0=1
_v_add_co_u32 v68, vcc, v64, s58                   // coord0.2: coord0 += d0*sg0*VW + vc0
v_cmp_lt_u32 s[58:59], v68, s[sgprSizeI]           // coord0 < size0
v_cmp_lt_u32 s[80:81], v65, s[sgprSizeJ]           // coord1 < size1
s_and_b64 s[80:81], s[58:59], s[80:81]             // in0 && in1
_v_add_lshl_u32 v95, v67, v68, 0x2                 // scaleToBpe: accumulate d0 lower and *= bpe into Cin addr
v_cndmask_b32 v95, -1, v95, s[80:81]               // LDD clip if OOB. offset
_buffer_load_b32 v99, v95, s[sgprSrdD:sgprSrdD+3], 0, offen offset:0 // load D (atomic) bpm=4 vaw=1
/* (d1,vc1,d0,vc0)=(0,3,1,2) */
s_mov_b32 s58, 66                                  // coordOffset0 d0=1 vc0=2
_v_add_co_u32 v68, vcc, v64, s58                   // coord0.2: coord0 += d0*sg0*VW + vc0
v_cmp_lt_u32 s[58:59], v68, s[sgprSizeI]           // coord0 < size0
v_cmp_lt_u32 s[82:83], v65, s[sgprSizeJ]           // coord1 < size1
s_and_b64 s[82:83], s[58:59], s[82:83]             // in0 && in1
_v_add_lshl_u32 v100, v67, v68, 0x2                // scaleToBpe: accumulate d0 lower and *= bpe into Cin addr
v_cndmask_b32 v100, -1, v100, s[82:83]             // LDD clip if OOB. offset
_buffer_load_b32 v103, v100, s[sgprSrdD:sgprSrdD+3], 0, offen offset:0 // load D (atomic) bpm=4 vaw=1
/* (d1,vc1,d0,vc0)=(0,3,1,3) */
s_mov_b32 s58, 67                                  // coordOffset0 d0=1 vc0=3
_v_add_co_u32 v68, vcc, v64, s58                   // coord0.2: coord0 += d0*sg0*VW + vc0
v_cmp_lt_u32 s[58:59], v68, s[sgprSizeI]           // coord0 < size0
v_cmp_lt_u32 s[84:85], v65, s[sgprSizeJ]           // coord1 < size1
s_and_b64 s[84:85], s[58:59], s[84:85]             // in0 && in1
_v_add_lshl_u32 v101, v67, v68, 0x2                // scaleToBpe: accumulate d0 lower and *= bpe into Cin addr
v_cndmask_b32 v101, -1, v101, s[84:85]             // LDD clip if OOB. offset
_buffer_load_b32 v105, v101, s[sgprSrdD:sgprSrdD+3], 0, offen offset:0 // load D (atomic) bpm=4 vaw=1
/* (d1,vc1,d0,vc0)=(1,0,0,0) */
_v_add_co_u32 v65, vcc, v65, 61                    // coord1.1: coord1Vgpr += d1*sg1*VW + vc1

/* Fix for UseInitialStridesCD, emitAddressSetupCode */
s_mul_i32 s58, s[sgprStrideC1J], 61                // scale stride
_v_add_u32 v66, v66, s58                           // ROWINC- Move cinRowPtr to next row
s_mul_i32 s58, s[sgprStrideD1J], 61                // scale stride
_v_add_u32 v67, v67, s58                           // Move coutRowPtr to next row
v_cmp_lt_u32 s[58:59], v64, s[sgprSizeI]           // coord0 < size0
v_cmp_lt_u32 s[86:87], v65, s[sgprSizeJ]           // coord1 < size1
s_and_b64 s[86:87], s[58:59], s[86:87]             // in0 && in1
_v_add_lshl_u32 v106, v67, v64, 0x2                // scaleToBpe: accumulate d0 lower and *= bpe into Cin addr
v_cndmask_b32 v106, -1, v106, s[86:87]             // LDD clip if OOB. offset
_buffer_load_b32 v109, v106, s[sgprSrdD:sgprSrdD+3], 0, offen offset:0 // load D (atomic) bpm=4 vaw=1
/* (d1,vc1,d0,vc0)=(1,0,0,1) */
_v_add_co_u32 v68, vcc, v64, 1                     // coord0.1: coord0 += d0*sg0*VW + vc0
v_cmp_lt_u32 s[58:59], v68, s[sgprSizeI]           // coord0 < size0
v_cmp_lt_u32 s[88:89], v65, s[sgprSizeJ]           // coord1 < size1
s_and_b64 s[88:89], s[58:59], s[88:89]             // in0 && in1
_v_add_lshl_u32 v107, v67, v68, 0x2                // scaleToBpe: accumulate d0 lower and *= bpe into Cin addr
v_cndmask_b32 v107, -1, v107, s[88:89]             // LDD clip if OOB. offset
_buffer_load_b32 v111, v107, s[sgprSrdD:sgprSrdD+3], 0, offen offset:0 // load D (atomic) bpm=4 vaw=1
/* (d1,vc1,d0,vc0)=(1,0,0,2) */
_v_add_co_u32 v68, vcc, v64, 2                     // coord0.1: coord0 += d0*sg0*VW + vc0
	;; [unrolled: 8-line block ×3, first 2 shown]
v_cmp_lt_u32 s[58:59], v68, s[sgprSizeI]           // coord0 < size0
v_cmp_lt_u32 s[92:93], v65, s[sgprSizeJ]           // coord1 < size1
s_and_b64 s[92:93], s[58:59], s[92:93]             // in0 && in1
_v_add_lshl_u32 v113, v67, v68, 0x2                // scaleToBpe: accumulate d0 lower and *= bpe into Cin addr
v_cndmask_b32 v113, -1, v113, s[92:93]             // LDD clip if OOB. offset
_buffer_load_b32 v117, v113, s[sgprSrdD:sgprSrdD+3], 0, offen offset:0 // load D (atomic) bpm=4 vaw=1
/* (d1,vc1,d0,vc0)=(1,0,1,0) */
_v_add_co_u32 v68, vcc, v64, 64                    // coord0.1: coord0 += d0*sg0*VW + vc0
v_cmp_lt_u32 s[58:59], v68, s[sgprSizeI]           // coord0 < size0
v_cmp_lt_u32 s[94:95], v65, s[sgprSizeJ]           // coord1 < size1
s_and_b64 s[94:95], s[58:59], s[94:95]             // in0 && in1
_v_add_lshl_u32 v121, v67, v68, 0x2                // scaleToBpe: accumulate d0 lower and *= bpe into Cin addr
v_cndmask_b32 v121, -1, v121, s[94:95]             // LDD clip if OOB. offset
_buffer_load_b32 v123, v121, s[sgprSrdD:sgprSrdD+3], 0, offen offset:0 // load D (atomic) bpm=4 vaw=1
/* (d1,vc1,d0,vc0)=(1,0,1,1) */
s_mov_b32 s58, 65                                  // coordOffset0 d0=1 vc0=1
_v_add_co_u32 v68, vcc, v64, s58                   // coord0.2: coord0 += d0*sg0*VW + vc0
v_cmp_lt_u32 s[58:59], v68, s[sgprSizeI]           // coord0 < size0
v_cmp_lt_u32 s[96:97], v65, s[sgprSizeJ]           // coord1 < size1
s_and_b64 s[96:97], s[58:59], s[96:97]             // in0 && in1
_v_add_lshl_u32 v124, v67, v68, 0x2                // scaleToBpe: accumulate d0 lower and *= bpe into Cin addr
v_cndmask_b32 v124, -1, v124, s[96:97]             // LDD clip if OOB. offset
_buffer_load_b32 v127, v124, s[sgprSrdD:sgprSrdD+3], 0, offen offset:0 // load D (atomic) bpm=4 vaw=1
/* (d1,vc1,d0,vc0)=(1,0,1,2) */
s_mov_b32 s58, 66                                  // coordOffset0 d0=1 vc0=2
_v_add_co_u32 v68, vcc, v64, s58                   // coord0.2: coord0 += d0*sg0*VW + vc0
	;; [unrolled: 9-line block ×3, first 2 shown]
v_cmp_lt_u32 s[58:59], v68, s[sgprSizeI]           // coord0 < size0
v_cmp_lt_u32 s[100:101], v65, s[sgprSizeJ]         // coord1 < size1
s_and_b64 s[100:101], s[58:59], s[100:101]         // in0 && in1
_v_add_lshl_u32 v130, v67, v68, 0x2                // scaleToBpe: accumulate d0 lower and *= bpe into Cin addr
v_cndmask_b32 v130, -1, v130, s[100:101]           // LDD clip if OOB. offset
_buffer_load_b32 v133, v130, s[sgprSrdD:sgprSrdD+3], 0, offen offset:0 // load D (atomic) bpm=4 vaw=1

/* rC *= alpha batchElements=[(0, 1, 2, 0), (0, 1, 2, 1), (0, 1, 2, 2), (0, 1, 2, 3), (0, 0, 3, 0), (0, 0, 3, 1), (0, 0, 3, 2), (0, 0, 3, 3), (0, 1, 3, 0), (0, 1, 3, 1), (0, 1, 3, 2), (0, 1, 3, 3), (1, 0, 0, 0), (1, 0, 0, 1), (1, 0, 0, 2), (1, 0, 0, 3), (1, 1, 0, 0), (1, 1, 0, 1), (1, 1, 0, 2), (1, 1, 0, 3)] */
v_mul_f32 v[vgprValuC+20], s[sgprAlpha], v[vgprValuC+20] // *= alpha
v_mul_f32 v[vgprValuC+21], s[sgprAlpha], v[vgprValuC+21] // *= alpha
	;; [unrolled: 1-line block ×20, first 2 shown]
s_waitcnt vmcnt(0)                                 // wait C (atomic)

/* issue first atomic writes */
s_mov_b64 exec, s[62:63]                           // sgprs -> exec (before atomic)
v_add_f32 v72, v73, v[vgprValuC+20]                // desired value
_buffer_atomic_cmpswap_b32 v[72:73], v70, s[sgprSrdD:sgprSrdD+3] 0 offen offset:0 glc   // attempt write
s_mov_b64 exec, s[64:65]                           // sgprs -> exec (before atomic)
v_add_f32 v74, v75, v[vgprValuC+21]                // desired value
_buffer_atomic_cmpswap_b32 v[74:75], v71, s[sgprSrdD:sgprSrdD+3] 0 offen offset:0 glc   // attempt write
	;; [unrolled: 3-line block ×10, first 2 shown]
s_mov_b64 exec, s[82:83]                           // sgprs -> exec (before atomic)
v_add_f32 v102, v103, v[vgprValuC+30]              // desired value
_buffer_atomic_cmpswap_b32 v[102:103], v100, s[sgprSrdD:sgprSrdD+3] 0 offen offset:0 glc   // attempt write
s_mov_b64 exec, s[84:85]                           // sgprs -> exec (before atomic)
v_add_f32 v104, v105, v[vgprValuC+31]              // desired value
_buffer_atomic_cmpswap_b32 v[104:105], v101, s[sgprSrdD:sgprSrdD+3] 0 offen offset:0 glc   // attempt write
	;; [unrolled: 3-line block ×9, first 2 shown]
s_mov_b64 exec, s[100:101]                         // sgprs -> exec (before atomic)
v_add_f32 v132, v133, v[vgprValuC+39]              // desired value
_buffer_atomic_cmpswap_b32 v[132:133], v130, s[sgprSrdD:sgprSrdD+3] 0 offen offset:0 glc   // attempt write
s_waitcnt vmcnt(0)                                 // wait for atomic writes

/* check success of writes, update masks */
s_mov_b64 exec, s[62:63]                           // sgprs -> exec
v_cmp_ne_u32 s[58:59], v72, v73                    // c read during atomic != c read during prior load
s_and_b64 s[62:63], s[58:59], s[62:63]             // inBounds & must try again
s_mov_b64 exec, s[64:65]                           // sgprs -> exec
v_cmp_ne_u32 s[58:59], v74, v75                    // c read during atomic != c read during prior load
s_and_b64 s[64:65], s[58:59], s[64:65]             // inBounds & must try again
	;; [unrolled: 3-line block ×10, first 2 shown]
s_mov_b64 exec, s[82:83]                           // sgprs -> exec
v_cmp_ne_u32 s[58:59], v102, v103                  // c read during atomic != c read during prior load
s_and_b64 s[82:83], s[58:59], s[82:83]             // inBounds & must try again
s_mov_b64 exec, s[84:85]                           // sgprs -> exec
v_cmp_ne_u32 s[58:59], v104, v105                  // c read during atomic != c read during prior load
s_and_b64 s[84:85], s[58:59], s[84:85]             // inBounds & must try again
	;; [unrolled: 3-line block ×9, first 2 shown]
s_mov_b64 exec, s[100:101]                         // sgprs -> exec
v_cmp_ne_u32 s[58:59], v132, v133                  // c read during atomic != c read during prior load
s_and_b64 s[100:101], s[58:59], s[100:101]         // inBounds & must try again

/* or masks to check for exit */
s_mov_b64 s[58:59], 0x0                            // empty mask
s_or_b64 s[58:59], s[62:63], s[58:59]              // or to add threads
s_or_b64 s[58:59], s[64:65], s[58:59]              // or to add threads
	;; [unrolled: 1-line block ×19, first 2 shown]
s_or_b64 s[58:59], s[100:101], s[58:59]            // or to add threads
s_or_saveexec_b64 s[60:61], s[58:59]               // apply combined mask
s_cbranch_execz label_0053                         // if exec is zero skip loop

/* atomic CAS loop */
label_0052:

/* apply updated masks and issue writes again */
s_mov_b64 exec, s[62:63]                           // must try again
v_mov_b32 v73, v72                                 // dataV+1 = tmp (new original C)
v_add_f32 v72, v73, v[vgprValuC+20]                // newC = rC + originalC
_buffer_atomic_cmpswap_b32 v[72:73], v70, s[sgprSrdD:sgprSrdD+3] 0 offen offset:0 glc   // attempt write
s_mov_b64 exec, s[64:65]                           // must try again
v_mov_b32 v75, v74                                 // dataV+1 = tmp (new original C)
v_add_f32 v74, v75, v[vgprValuC+21]                // newC = rC + originalC
_buffer_atomic_cmpswap_b32 v[74:75], v71, s[sgprSrdD:sgprSrdD+3] 0 offen offset:0 glc   // attempt write
	;; [unrolled: 4-line block ×10, first 2 shown]
s_mov_b64 exec, s[82:83]                           // must try again
v_mov_b32 v103, v102                               // dataV+1 = tmp (new original C)
v_add_f32 v102, v103, v[vgprValuC+30]              // newC = rC + originalC
_buffer_atomic_cmpswap_b32 v[102:103], v100, s[sgprSrdD:sgprSrdD+3] 0 offen offset:0 glc   // attempt write
s_mov_b64 exec, s[84:85]                           // must try again
v_mov_b32 v105, v104                               // dataV+1 = tmp (new original C)
v_add_f32 v104, v105, v[vgprValuC+31]              // newC = rC + originalC
_buffer_atomic_cmpswap_b32 v[104:105], v101, s[sgprSrdD:sgprSrdD+3] 0 offen offset:0 glc   // attempt write
	;; [unrolled: 4-line block ×9, first 2 shown]
s_mov_b64 exec, s[100:101]                         // must try again
v_mov_b32 v133, v132                               // dataV+1 = tmp (new original C)
v_add_f32 v132, v133, v[vgprValuC+39]              // newC = rC + originalC
_buffer_atomic_cmpswap_b32 v[132:133], v130, s[sgprSrdD:sgprSrdD+3] 0 offen offset:0 glc   // attempt write
s_waitcnt vmcnt(0)                                 // wait for atomic writes

/* apply masks and check for success */
s_mov_b64 exec, s[62:63]                           // must try again
v_cmp_ne_u32 s[58:59], v72, v73                    // c read during atomic != c read during prior load
s_and_b64 s[62:63], s[58:59], s[62:63]             // inBounds & must try again
s_mov_b64 exec, s[64:65]                           // must try again
v_cmp_ne_u32 s[58:59], v74, v75                    // c read during atomic != c read during prior load
s_and_b64 s[64:65], s[58:59], s[64:65]             // inBounds & must try again
	;; [unrolled: 3-line block ×10, first 2 shown]
s_mov_b64 exec, s[82:83]                           // must try again
v_cmp_ne_u32 s[58:59], v102, v103                  // c read during atomic != c read during prior load
s_and_b64 s[82:83], s[58:59], s[82:83]             // inBounds & must try again
s_mov_b64 exec, s[84:85]                           // must try again
v_cmp_ne_u32 s[58:59], v104, v105                  // c read during atomic != c read during prior load
s_and_b64 s[84:85], s[58:59], s[84:85]             // inBounds & must try again
	;; [unrolled: 3-line block ×9, first 2 shown]
s_mov_b64 exec, s[100:101]                         // must try again
v_cmp_ne_u32 s[58:59], v132, v133                  // c read during atomic != c read during prior load
s_and_b64 s[100:101], s[58:59], s[100:101]         // inBounds & must try again

/* or masks to check for exit */
s_mov_b64 s[58:59], 0x0                            // empty mask
s_or_b64 s[58:59], s[62:63], s[58:59]              // or to add threads
s_or_b64 s[58:59], s[64:65], s[58:59]              // or to add threads
	;; [unrolled: 1-line block ×19, first 2 shown]
s_or_b64 s[58:59], s[100:101], s[58:59]            // or to add threads
s_or_saveexec_b64 s[60:61], s[58:59]               // apply combined mask
s_cbranch_execnz label_0052                        // try again if not complete
label_0053:
s_mov_b64 exec, -1                                 // full mask -> exec
/* optSingleColVgpr=0 optSharedColVgpr=0 optSGPRUsage=None optSrdIncForRow=0 */

/******************************************/
/* Global Write Alpha Edge Batch #2 (d1,d0,vc1,vc0) = */
/*    (1,0,1,0:vw1:vaw:1); (1,0,1,1:vw1:vaw:1); (1,0,1,2:vw1:vaw:1); (1,0,1,3:vw1:vaw:1); (1,1,1,0:vw1:vaw:1); (1,1,1,1:vw1:vaw:1); (1,1,1,2:vw1:vaw:1); (1,1,1,3:vw1:vaw:1); (1,0,2,0:vw1:vaw:1); (1,0,2,1:vw1:vaw:1); (1,0,2,2:vw1:vaw:1); (1,0,2,3:vw1:vaw:1); (1,1,2,0:vw1:vaw:1); (1,1,2,1:vw1:vaw:1); (1,1,2,2:vw1:vaw:1); (1,1,2,3:vw1:vaw:1); (1,0,3,0:vw1:vaw:1); (1,0,3,1:vw1:vaw:1); (1,0,3,2:vw1:vaw:1); (1,0,3,3:vw1:vaw:1) */
/******************************************/

/* calc coords, apply mask, and issue loads (if necessary) */
/* (d1,vc1,d0,vc0)=(1,1,0,0) */
_v_add_co_u32 v65, vcc, v65, 1                     // coord1.1: coord1Vgpr += d1*sg1*VW + vc1

/* Fix for UseInitialStridesCD, emitAddressSetupCode */
_v_add_u32 v66, v66, s[sgprStrideC1J]              // ROWINC- Move cinRowPtr to next row
_v_add_u32 v67, v67, s[sgprStrideD1J]              // Move coutRowPtr to next row
v_cmp_lt_u32 s[58:59], v64, s[sgprSizeI]           // coord0 < size0
v_cmp_lt_u32 s[62:63], v65, s[sgprSizeJ]           // coord1 < size1
s_and_b64 s[62:63], s[58:59], s[62:63]             // in0 && in1
_v_add_lshl_u32 v70, v67, v64, 0x2                 // scaleToBpe: accumulate d0 lower and *= bpe into Cin addr
v_cndmask_b32 v70, -1, v70, s[62:63]               // LDD clip if OOB. offset
_buffer_load_b32 v73, v70, s[sgprSrdD:sgprSrdD+3], 0, offen offset:0 // load D (atomic) bpm=4 vaw=1
/* (d1,vc1,d0,vc0)=(1,1,0,1) */
_v_add_co_u32 v68, vcc, v64, 1                     // coord0.1: coord0 += d0*sg0*VW + vc0
v_cmp_lt_u32 s[58:59], v68, s[sgprSizeI]           // coord0 < size0
v_cmp_lt_u32 s[64:65], v65, s[sgprSizeJ]           // coord1 < size1
s_and_b64 s[64:65], s[58:59], s[64:65]             // in0 && in1
_v_add_lshl_u32 v71, v67, v68, 0x2                 // scaleToBpe: accumulate d0 lower and *= bpe into Cin addr
v_cndmask_b32 v71, -1, v71, s[64:65]               // LDD clip if OOB. offset
_buffer_load_b32 v75, v71, s[sgprSrdD:sgprSrdD+3], 0, offen offset:0 // load D (atomic) bpm=4 vaw=1
/* (d1,vc1,d0,vc0)=(1,1,0,2) */
_v_add_co_u32 v68, vcc, v64, 2                     // coord0.1: coord0 += d0*sg0*VW + vc0
	;; [unrolled: 8-line block ×3, first 2 shown]
v_cmp_lt_u32 s[58:59], v68, s[sgprSizeI]           // coord0 < size0
v_cmp_lt_u32 s[68:69], v65, s[sgprSizeJ]           // coord1 < size1
s_and_b64 s[68:69], s[58:59], s[68:69]             // in0 && in1
_v_add_lshl_u32 v77, v67, v68, 0x2                 // scaleToBpe: accumulate d0 lower and *= bpe into Cin addr
v_cndmask_b32 v77, -1, v77, s[68:69]               // LDD clip if OOB. offset
_buffer_load_b32 v81, v77, s[sgprSrdD:sgprSrdD+3], 0, offen offset:0 // load D (atomic) bpm=4 vaw=1
/* (d1,vc1,d0,vc0)=(1,1,1,0) */
_v_add_co_u32 v68, vcc, v64, 64                    // coord0.1: coord0 += d0*sg0*VW + vc0
v_cmp_lt_u32 s[58:59], v68, s[sgprSizeI]           // coord0 < size0
v_cmp_lt_u32 s[70:71], v65, s[sgprSizeJ]           // coord1 < size1
s_and_b64 s[70:71], s[58:59], s[70:71]             // in0 && in1
_v_add_lshl_u32 v82, v67, v68, 0x2                 // scaleToBpe: accumulate d0 lower and *= bpe into Cin addr
v_cndmask_b32 v82, -1, v82, s[70:71]               // LDD clip if OOB. offset
_buffer_load_b32 v85, v82, s[sgprSrdD:sgprSrdD+3], 0, offen offset:0 // load D (atomic) bpm=4 vaw=1
/* (d1,vc1,d0,vc0)=(1,1,1,1) */
s_mov_b32 s58, 65                                  // coordOffset0 d0=1 vc0=1
_v_add_co_u32 v68, vcc, v64, s58                   // coord0.2: coord0 += d0*sg0*VW + vc0
v_cmp_lt_u32 s[58:59], v68, s[sgprSizeI]           // coord0 < size0
v_cmp_lt_u32 s[72:73], v65, s[sgprSizeJ]           // coord1 < size1
s_and_b64 s[72:73], s[58:59], s[72:73]             // in0 && in1
_v_add_lshl_u32 v83, v67, v68, 0x2                 // scaleToBpe: accumulate d0 lower and *= bpe into Cin addr
v_cndmask_b32 v83, -1, v83, s[72:73]               // LDD clip if OOB. offset
_buffer_load_b32 v87, v83, s[sgprSrdD:sgprSrdD+3], 0, offen offset:0 // load D (atomic) bpm=4 vaw=1
/* (d1,vc1,d0,vc0)=(1,1,1,2) */
s_mov_b32 s58, 66                                  // coordOffset0 d0=1 vc0=2
_v_add_co_u32 v68, vcc, v64, s58                   // coord0.2: coord0 += d0*sg0*VW + vc0
	;; [unrolled: 9-line block ×3, first 2 shown]
v_cmp_lt_u32 s[58:59], v68, s[sgprSizeI]           // coord0 < size0
v_cmp_lt_u32 s[76:77], v65, s[sgprSizeJ]           // coord1 < size1
s_and_b64 s[76:77], s[58:59], s[76:77]             // in0 && in1
_v_add_lshl_u32 v89, v67, v68, 0x2                 // scaleToBpe: accumulate d0 lower and *= bpe into Cin addr
v_cndmask_b32 v89, -1, v89, s[76:77]               // LDD clip if OOB. offset
_buffer_load_b32 v93, v89, s[sgprSrdD:sgprSrdD+3], 0, offen offset:0 // load D (atomic) bpm=4 vaw=1
/* (d1,vc1,d0,vc0)=(1,2,0,0) */
_v_add_co_u32 v65, vcc, v65, 1                     // coord1.1: coord1Vgpr += d1*sg1*VW + vc1

/* Fix for UseInitialStridesCD, emitAddressSetupCode */
_v_add_u32 v66, v66, s[sgprStrideC1J]              // ROWINC- Move cinRowPtr to next row
_v_add_u32 v67, v67, s[sgprStrideD1J]              // Move coutRowPtr to next row
v_cmp_lt_u32 s[58:59], v64, s[sgprSizeI]           // coord0 < size0
v_cmp_lt_u32 s[78:79], v65, s[sgprSizeJ]           // coord1 < size1
s_and_b64 s[78:79], s[58:59], s[78:79]             // in0 && in1
_v_add_lshl_u32 v94, v67, v64, 0x2                 // scaleToBpe: accumulate d0 lower and *= bpe into Cin addr
v_cndmask_b32 v94, -1, v94, s[78:79]               // LDD clip if OOB. offset
_buffer_load_b32 v97, v94, s[sgprSrdD:sgprSrdD+3], 0, offen offset:0 // load D (atomic) bpm=4 vaw=1
/* (d1,vc1,d0,vc0)=(1,2,0,1) */
_v_add_co_u32 v68, vcc, v64, 1                     // coord0.1: coord0 += d0*sg0*VW + vc0
v_cmp_lt_u32 s[58:59], v68, s[sgprSizeI]           // coord0 < size0
v_cmp_lt_u32 s[80:81], v65, s[sgprSizeJ]           // coord1 < size1
s_and_b64 s[80:81], s[58:59], s[80:81]             // in0 && in1
_v_add_lshl_u32 v95, v67, v68, 0x2                 // scaleToBpe: accumulate d0 lower and *= bpe into Cin addr
v_cndmask_b32 v95, -1, v95, s[80:81]               // LDD clip if OOB. offset
_buffer_load_b32 v99, v95, s[sgprSrdD:sgprSrdD+3], 0, offen offset:0 // load D (atomic) bpm=4 vaw=1
/* (d1,vc1,d0,vc0)=(1,2,0,2) */
_v_add_co_u32 v68, vcc, v64, 2                     // coord0.1: coord0 += d0*sg0*VW + vc0
v_cmp_lt_u32 s[58:59], v68, s[sgprSizeI]           // coord0 < size0
v_cmp_lt_u32 s[82:83], v65, s[sgprSizeJ]           // coord1 < size1
s_and_b64 s[82:83], s[58:59], s[82:83]             // in0 && in1
_v_add_lshl_u32 v100, v67, v68, 0x2                // scaleToBpe: accumulate d0 lower and *= bpe into Cin addr
v_cndmask_b32 v100, -1, v100, s[82:83]             // LDD clip if OOB. offset
_buffer_load_b32 v103, v100, s[sgprSrdD:sgprSrdD+3], 0, offen offset:0 // load D (atomic) bpm=4 vaw=1
/* (d1,vc1,d0,vc0)=(1,2,0,3) */
_v_add_co_u32 v68, vcc, v64, 3                     // coord0.1: coord0 += d0*sg0*VW + vc0
v_cmp_lt_u32 s[58:59], v68, s[sgprSizeI]           // coord0 < size0
v_cmp_lt_u32 s[84:85], v65, s[sgprSizeJ]           // coord1 < size1
s_and_b64 s[84:85], s[58:59], s[84:85]             // in0 && in1
_v_add_lshl_u32 v101, v67, v68, 0x2                // scaleToBpe: accumulate d0 lower and *= bpe into Cin addr
v_cndmask_b32 v101, -1, v101, s[84:85]             // LDD clip if OOB. offset
_buffer_load_b32 v105, v101, s[sgprSrdD:sgprSrdD+3], 0, offen offset:0 // load D (atomic) bpm=4 vaw=1
/* (d1,vc1,d0,vc0)=(1,2,1,0) */
_v_add_co_u32 v68, vcc, v64, 64                    // coord0.1: coord0 += d0*sg0*VW + vc0
v_cmp_lt_u32 s[58:59], v68, s[sgprSizeI]           // coord0 < size0
v_cmp_lt_u32 s[86:87], v65, s[sgprSizeJ]           // coord1 < size1
s_and_b64 s[86:87], s[58:59], s[86:87]             // in0 && in1
_v_add_lshl_u32 v106, v67, v68, 0x2                // scaleToBpe: accumulate d0 lower and *= bpe into Cin addr
v_cndmask_b32 v106, -1, v106, s[86:87]             // LDD clip if OOB. offset
_buffer_load_b32 v109, v106, s[sgprSrdD:sgprSrdD+3], 0, offen offset:0 // load D (atomic) bpm=4 vaw=1
/* (d1,vc1,d0,vc0)=(1,2,1,1) */
s_mov_b32 s58, 65                                  // coordOffset0 d0=1 vc0=1
_v_add_co_u32 v68, vcc, v64, s58                   // coord0.2: coord0 += d0*sg0*VW + vc0
v_cmp_lt_u32 s[58:59], v68, s[sgprSizeI]           // coord0 < size0
v_cmp_lt_u32 s[88:89], v65, s[sgprSizeJ]           // coord1 < size1
s_and_b64 s[88:89], s[58:59], s[88:89]             // in0 && in1
_v_add_lshl_u32 v107, v67, v68, 0x2                // scaleToBpe: accumulate d0 lower and *= bpe into Cin addr
v_cndmask_b32 v107, -1, v107, s[88:89]             // LDD clip if OOB. offset
_buffer_load_b32 v111, v107, s[sgprSrdD:sgprSrdD+3], 0, offen offset:0 // load D (atomic) bpm=4 vaw=1
/* (d1,vc1,d0,vc0)=(1,2,1,2) */
s_mov_b32 s58, 66                                  // coordOffset0 d0=1 vc0=2
_v_add_co_u32 v68, vcc, v64, s58                   // coord0.2: coord0 += d0*sg0*VW + vc0
	;; [unrolled: 9-line block ×3, first 2 shown]
v_cmp_lt_u32 s[58:59], v68, s[sgprSizeI]           // coord0 < size0
v_cmp_lt_u32 s[92:93], v65, s[sgprSizeJ]           // coord1 < size1
s_and_b64 s[92:93], s[58:59], s[92:93]             // in0 && in1
_v_add_lshl_u32 v113, v67, v68, 0x2                // scaleToBpe: accumulate d0 lower and *= bpe into Cin addr
v_cndmask_b32 v113, -1, v113, s[92:93]             // LDD clip if OOB. offset
_buffer_load_b32 v117, v113, s[sgprSrdD:sgprSrdD+3], 0, offen offset:0 // load D (atomic) bpm=4 vaw=1
/* (d1,vc1,d0,vc0)=(1,3,0,0) */
_v_add_co_u32 v65, vcc, v65, 1                     // coord1.1: coord1Vgpr += d1*sg1*VW + vc1

/* Fix for UseInitialStridesCD, emitAddressSetupCode */
_v_add_u32 v66, v66, s[sgprStrideC1J]              // ROWINC- Move cinRowPtr to next row
_v_add_u32 v67, v67, s[sgprStrideD1J]              // Move coutRowPtr to next row
v_cmp_lt_u32 s[58:59], v64, s[sgprSizeI]           // coord0 < size0
v_cmp_lt_u32 s[94:95], v65, s[sgprSizeJ]           // coord1 < size1
s_and_b64 s[94:95], s[58:59], s[94:95]             // in0 && in1
_v_add_lshl_u32 v121, v67, v64, 0x2                // scaleToBpe: accumulate d0 lower and *= bpe into Cin addr
v_cndmask_b32 v121, -1, v121, s[94:95]             // LDD clip if OOB. offset
_buffer_load_b32 v123, v121, s[sgprSrdD:sgprSrdD+3], 0, offen offset:0 // load D (atomic) bpm=4 vaw=1
/* (d1,vc1,d0,vc0)=(1,3,0,1) */
_v_add_co_u32 v68, vcc, v64, 1                     // coord0.1: coord0 += d0*sg0*VW + vc0
v_cmp_lt_u32 s[58:59], v68, s[sgprSizeI]           // coord0 < size0
v_cmp_lt_u32 s[96:97], v65, s[sgprSizeJ]           // coord1 < size1
s_and_b64 s[96:97], s[58:59], s[96:97]             // in0 && in1
_v_add_lshl_u32 v124, v67, v68, 0x2                // scaleToBpe: accumulate d0 lower and *= bpe into Cin addr
v_cndmask_b32 v124, -1, v124, s[96:97]             // LDD clip if OOB. offset
_buffer_load_b32 v127, v124, s[sgprSrdD:sgprSrdD+3], 0, offen offset:0 // load D (atomic) bpm=4 vaw=1
/* (d1,vc1,d0,vc0)=(1,3,0,2) */
_v_add_co_u32 v68, vcc, v64, 2                     // coord0.1: coord0 += d0*sg0*VW + vc0
	;; [unrolled: 8-line block ×3, first 2 shown]
v_cmp_lt_u32 s[58:59], v68, s[sgprSizeI]           // coord0 < size0
v_cmp_lt_u32 s[100:101], v65, s[sgprSizeJ]         // coord1 < size1
s_and_b64 s[100:101], s[58:59], s[100:101]         // in0 && in1
_v_add_lshl_u32 v130, v67, v68, 0x2                // scaleToBpe: accumulate d0 lower and *= bpe into Cin addr
v_cndmask_b32 v130, -1, v130, s[100:101]           // LDD clip if OOB. offset
_buffer_load_b32 v133, v130, s[sgprSrdD:sgprSrdD+3], 0, offen offset:0 // load D (atomic) bpm=4 vaw=1

/* rC *= alpha batchElements=[(1, 0, 1, 0), (1, 0, 1, 1), (1, 0, 1, 2), (1, 0, 1, 3), (1, 1, 1, 0), (1, 1, 1, 1), (1, 1, 1, 2), (1, 1, 1, 3), (1, 0, 2, 0), (1, 0, 2, 1), (1, 0, 2, 2), (1, 0, 2, 3), (1, 1, 2, 0), (1, 1, 2, 1), (1, 1, 2, 2), (1, 1, 2, 3), (1, 0, 3, 0), (1, 0, 3, 1), (1, 0, 3, 2), (1, 0, 3, 3)] */
v_mul_f32 v[vgprValuC+40], s[sgprAlpha], v[vgprValuC+40] // *= alpha
v_mul_f32 v[vgprValuC+41], s[sgprAlpha], v[vgprValuC+41] // *= alpha
	;; [unrolled: 1-line block ×20, first 2 shown]
s_waitcnt vmcnt(0)                                 // wait C (atomic)

/* issue first atomic writes */
s_mov_b64 exec, s[62:63]                           // sgprs -> exec (before atomic)
v_add_f32 v72, v73, v[vgprValuC+40]                // desired value
_buffer_atomic_cmpswap_b32 v[72:73], v70, s[sgprSrdD:sgprSrdD+3] 0 offen offset:0 glc   // attempt write
s_mov_b64 exec, s[64:65]                           // sgprs -> exec (before atomic)
v_add_f32 v74, v75, v[vgprValuC+41]                // desired value
_buffer_atomic_cmpswap_b32 v[74:75], v71, s[sgprSrdD:sgprSrdD+3] 0 offen offset:0 glc   // attempt write
	;; [unrolled: 3-line block ×10, first 2 shown]
s_mov_b64 exec, s[82:83]                           // sgprs -> exec (before atomic)
v_add_f32 v102, v103, v[vgprValuC+50]              // desired value
_buffer_atomic_cmpswap_b32 v[102:103], v100, s[sgprSrdD:sgprSrdD+3] 0 offen offset:0 glc   // attempt write
s_mov_b64 exec, s[84:85]                           // sgprs -> exec (before atomic)
v_add_f32 v104, v105, v[vgprValuC+51]              // desired value
_buffer_atomic_cmpswap_b32 v[104:105], v101, s[sgprSrdD:sgprSrdD+3] 0 offen offset:0 glc   // attempt write
	;; [unrolled: 3-line block ×9, first 2 shown]
s_mov_b64 exec, s[100:101]                         // sgprs -> exec (before atomic)
v_add_f32 v132, v133, v[vgprValuC+59]              // desired value
_buffer_atomic_cmpswap_b32 v[132:133], v130, s[sgprSrdD:sgprSrdD+3] 0 offen offset:0 glc   // attempt write
s_waitcnt vmcnt(0)                                 // wait for atomic writes

/* check success of writes, update masks */
s_mov_b64 exec, s[62:63]                           // sgprs -> exec
v_cmp_ne_u32 s[58:59], v72, v73                    // c read during atomic != c read during prior load
s_and_b64 s[62:63], s[58:59], s[62:63]             // inBounds & must try again
s_mov_b64 exec, s[64:65]                           // sgprs -> exec
v_cmp_ne_u32 s[58:59], v74, v75                    // c read during atomic != c read during prior load
s_and_b64 s[64:65], s[58:59], s[64:65]             // inBounds & must try again
	;; [unrolled: 3-line block ×10, first 2 shown]
s_mov_b64 exec, s[82:83]                           // sgprs -> exec
v_cmp_ne_u32 s[58:59], v102, v103                  // c read during atomic != c read during prior load
s_and_b64 s[82:83], s[58:59], s[82:83]             // inBounds & must try again
s_mov_b64 exec, s[84:85]                           // sgprs -> exec
v_cmp_ne_u32 s[58:59], v104, v105                  // c read during atomic != c read during prior load
s_and_b64 s[84:85], s[58:59], s[84:85]             // inBounds & must try again
s_mov_b64 exec, s[86:87]                           // sgprs -> exec
v_cmp_ne_u32 s[58:59], v108, v109                  // c read during atomic != c read during prior load
s_and_b64 s[86:87], s[58:59], s[86:87]             // inBounds & must try again
s_mov_b64 exec, s[88:89]                           // sgprs -> exec
v_cmp_ne_u32 s[58:59], v110, v111                  // c read during atomic != c read during prior load
s_and_b64 s[88:89], s[58:59], s[88:89]             // inBounds & must try again
s_mov_b64 exec, s[90:91]                           // sgprs -> exec
v_cmp_ne_u32 s[58:59], v114, v115                  // c read during atomic != c read during prior load
s_and_b64 s[90:91], s[58:59], s[90:91]             // inBounds & must try again
s_mov_b64 exec, s[92:93]                           // sgprs -> exec
v_cmp_ne_u32 s[58:59], v116, v117                  // c read during atomic != c read during prior load
s_and_b64 s[92:93], s[58:59], s[92:93]             // inBounds & must try again
s_mov_b64 exec, s[94:95]                           // sgprs -> exec
v_cmp_ne_u32 s[58:59], v122, v123                  // c read during atomic != c read during prior load
s_and_b64 s[94:95], s[58:59], s[94:95]             // inBounds & must try again
s_mov_b64 exec, s[96:97]                           // sgprs -> exec
v_cmp_ne_u32 s[58:59], v126, v127                  // c read during atomic != c read during prior load
s_and_b64 s[96:97], s[58:59], s[96:97]             // inBounds & must try again
s_mov_b64 exec, s[98:99]                           // sgprs -> exec
v_cmp_ne_u32 s[58:59], v128, v129                  // c read during atomic != c read during prior load
s_and_b64 s[98:99], s[58:59], s[98:99]             // inBounds & must try again
s_mov_b64 exec, s[100:101]                         // sgprs -> exec
v_cmp_ne_u32 s[58:59], v132, v133                  // c read during atomic != c read during prior load
s_and_b64 s[100:101], s[58:59], s[100:101]         // inBounds & must try again

/* or masks to check for exit */
s_mov_b64 s[58:59], 0x0                            // empty mask
s_or_b64 s[58:59], s[62:63], s[58:59]              // or to add threads
s_or_b64 s[58:59], s[64:65], s[58:59]              // or to add threads
	;; [unrolled: 1-line block ×19, first 2 shown]
s_or_b64 s[58:59], s[100:101], s[58:59]            // or to add threads
s_or_saveexec_b64 s[60:61], s[58:59]               // apply combined mask
s_cbranch_execz label_0055                         // if exec is zero skip loop

/* atomic CAS loop */
label_0054:

/* apply updated masks and issue writes again */
s_mov_b64 exec, s[62:63]                           // must try again
v_mov_b32 v73, v72                                 // dataV+1 = tmp (new original C)
v_add_f32 v72, v73, v[vgprValuC+40]                // newC = rC + originalC
_buffer_atomic_cmpswap_b32 v[72:73], v70, s[sgprSrdD:sgprSrdD+3] 0 offen offset:0 glc   // attempt write
s_mov_b64 exec, s[64:65]                           // must try again
v_mov_b32 v75, v74                                 // dataV+1 = tmp (new original C)
v_add_f32 v74, v75, v[vgprValuC+41]                // newC = rC + originalC
_buffer_atomic_cmpswap_b32 v[74:75], v71, s[sgprSrdD:sgprSrdD+3] 0 offen offset:0 glc   // attempt write
	;; [unrolled: 4-line block ×10, first 2 shown]
s_mov_b64 exec, s[82:83]                           // must try again
v_mov_b32 v103, v102                               // dataV+1 = tmp (new original C)
v_add_f32 v102, v103, v[vgprValuC+50]              // newC = rC + originalC
_buffer_atomic_cmpswap_b32 v[102:103], v100, s[sgprSrdD:sgprSrdD+3] 0 offen offset:0 glc   // attempt write
s_mov_b64 exec, s[84:85]                           // must try again
v_mov_b32 v105, v104                               // dataV+1 = tmp (new original C)
v_add_f32 v104, v105, v[vgprValuC+51]              // newC = rC + originalC
_buffer_atomic_cmpswap_b32 v[104:105], v101, s[sgprSrdD:sgprSrdD+3] 0 offen offset:0 glc   // attempt write
	;; [unrolled: 4-line block ×9, first 2 shown]
s_mov_b64 exec, s[100:101]                         // must try again
v_mov_b32 v133, v132                               // dataV+1 = tmp (new original C)
v_add_f32 v132, v133, v[vgprValuC+59]              // newC = rC + originalC
_buffer_atomic_cmpswap_b32 v[132:133], v130, s[sgprSrdD:sgprSrdD+3] 0 offen offset:0 glc   // attempt write
s_waitcnt vmcnt(0)                                 // wait for atomic writes

/* apply masks and check for success */
s_mov_b64 exec, s[62:63]                           // must try again
v_cmp_ne_u32 s[58:59], v72, v73                    // c read during atomic != c read during prior load
s_and_b64 s[62:63], s[58:59], s[62:63]             // inBounds & must try again
s_mov_b64 exec, s[64:65]                           // must try again
v_cmp_ne_u32 s[58:59], v74, v75                    // c read during atomic != c read during prior load
s_and_b64 s[64:65], s[58:59], s[64:65]             // inBounds & must try again
	;; [unrolled: 3-line block ×10, first 2 shown]
s_mov_b64 exec, s[82:83]                           // must try again
v_cmp_ne_u32 s[58:59], v102, v103                  // c read during atomic != c read during prior load
s_and_b64 s[82:83], s[58:59], s[82:83]             // inBounds & must try again
s_mov_b64 exec, s[84:85]                           // must try again
v_cmp_ne_u32 s[58:59], v104, v105                  // c read during atomic != c read during prior load
s_and_b64 s[84:85], s[58:59], s[84:85]             // inBounds & must try again
	;; [unrolled: 3-line block ×9, first 2 shown]
s_mov_b64 exec, s[100:101]                         // must try again
v_cmp_ne_u32 s[58:59], v132, v133                  // c read during atomic != c read during prior load
s_and_b64 s[100:101], s[58:59], s[100:101]         // inBounds & must try again

/* or masks to check for exit */
s_mov_b64 s[58:59], 0x0                            // empty mask
s_or_b64 s[58:59], s[62:63], s[58:59]              // or to add threads
s_or_b64 s[58:59], s[64:65], s[58:59]              // or to add threads
	;; [unrolled: 1-line block ×19, first 2 shown]
s_or_b64 s[58:59], s[100:101], s[58:59]            // or to add threads
s_or_saveexec_b64 s[60:61], s[58:59]               // apply combined mask
s_cbranch_execnz label_0054                        // try again if not complete
label_0055:
s_mov_b64 exec, -1                                 // full mask -> exec
/* optSingleColVgpr=0 optSharedColVgpr=0 optSGPRUsage=None optSrdIncForRow=0 */

/******************************************/
/* Global Write Alpha Edge Batch #3 (d1,d0,vc1,vc0) = */
/*    (1,1,3,0:vw1:vaw:1); (1,1,3,1:vw1:vaw:1); (1,1,3,2:vw1:vaw:1); (1,1,3,3:vw1:vaw:1) */
/******************************************/

/* calc coords, apply mask, and issue loads (if necessary) */
/* (d1,vc1,d0,vc0)=(1,3,1,0) */
_v_add_co_u32 v68, vcc, v64, 64                    // coord0.1: coord0 += d0*sg0*VW + vc0
v_cmp_lt_u32 s[58:59], v68, s[sgprSizeI]           // coord0 < size0
v_cmp_lt_u32 s[62:63], v65, s[sgprSizeJ]           // coord1 < size1
s_and_b64 s[62:63], s[58:59], s[62:63]             // in0 && in1
_v_add_lshl_u32 v70, v67, v68, 0x2                 // scaleToBpe: accumulate d0 lower and *= bpe into Cin addr
v_cndmask_b32 v70, -1, v70, s[62:63]               // LDD clip if OOB. offset
_buffer_load_b32 v73, v70, s[sgprSrdD:sgprSrdD+3], 0, offen offset:0 // load D (atomic) bpm=4 vaw=1
/* (d1,vc1,d0,vc0)=(1,3,1,1) */
s_mov_b32 s58, 65                                  // coordOffset0 d0=1 vc0=1
_v_add_co_u32 v68, vcc, v64, s58                   // coord0.2: coord0 += d0*sg0*VW + vc0
v_cmp_lt_u32 s[58:59], v68, s[sgprSizeI]           // coord0 < size0
v_cmp_lt_u32 s[64:65], v65, s[sgprSizeJ]           // coord1 < size1
s_and_b64 s[64:65], s[58:59], s[64:65]             // in0 && in1
_v_add_lshl_u32 v71, v67, v68, 0x2                 // scaleToBpe: accumulate d0 lower and *= bpe into Cin addr
v_cndmask_b32 v71, -1, v71, s[64:65]               // LDD clip if OOB. offset
_buffer_load_b32 v75, v71, s[sgprSrdD:sgprSrdD+3], 0, offen offset:0 // load D (atomic) bpm=4 vaw=1
/* (d1,vc1,d0,vc0)=(1,3,1,2) */
s_mov_b32 s58, 66                                  // coordOffset0 d0=1 vc0=2
_v_add_co_u32 v68, vcc, v64, s58                   // coord0.2: coord0 += d0*sg0*VW + vc0
	;; [unrolled: 9-line block ×3, first 2 shown]
v_cmp_lt_u32 s[58:59], v68, s[sgprSizeI]           // coord0 < size0
v_cmp_lt_u32 s[68:69], v65, s[sgprSizeJ]           // coord1 < size1
s_and_b64 s[68:69], s[58:59], s[68:69]             // in0 && in1
_v_add_lshl_u32 v77, v67, v68, 0x2                 // scaleToBpe: accumulate d0 lower and *= bpe into Cin addr
v_cndmask_b32 v77, -1, v77, s[68:69]               // LDD clip if OOB. offset
_buffer_load_b32 v81, v77, s[sgprSrdD:sgprSrdD+3], 0, offen offset:0 // load D (atomic) bpm=4 vaw=1

/* rC *= alpha batchElements=[(1, 1, 3, 0), (1, 1, 3, 1), (1, 1, 3, 2), (1, 1, 3, 3)] */
v_mul_f32 v[vgprValuC+60], s[sgprAlpha], v[vgprValuC+60] // *= alpha
v_mul_f32 v[vgprValuC+61], s[sgprAlpha], v[vgprValuC+61] // *= alpha
	;; [unrolled: 1-line block ×4, first 2 shown]
s_waitcnt vmcnt(0)                                 // wait C (atomic)

/* issue first atomic writes */
s_mov_b64 exec, s[62:63]                           // sgprs -> exec (before atomic)
v_add_f32 v72, v73, v[vgprValuC+60]                // desired value
_buffer_atomic_cmpswap_b32 v[72:73], v70, s[sgprSrdD:sgprSrdD+3] 0 offen offset:0 glc   // attempt write
s_mov_b64 exec, s[64:65]                           // sgprs -> exec (before atomic)
v_add_f32 v74, v75, v[vgprValuC+61]                // desired value
_buffer_atomic_cmpswap_b32 v[74:75], v71, s[sgprSrdD:sgprSrdD+3] 0 offen offset:0 glc   // attempt write
	;; [unrolled: 3-line block ×4, first 2 shown]
s_waitcnt vmcnt(0)                                 // wait for atomic writes

/* check success of writes, update masks */
s_mov_b64 exec, s[62:63]                           // sgprs -> exec
v_cmp_ne_u32 s[58:59], v72, v73                    // c read during atomic != c read during prior load
s_and_b64 s[62:63], s[58:59], s[62:63]             // inBounds & must try again
s_mov_b64 exec, s[64:65]                           // sgprs -> exec
v_cmp_ne_u32 s[58:59], v74, v75                    // c read during atomic != c read during prior load
s_and_b64 s[64:65], s[58:59], s[64:65]             // inBounds & must try again
	;; [unrolled: 3-line block ×4, first 2 shown]

/* or masks to check for exit */
s_mov_b64 s[58:59], 0x0                            // empty mask
s_or_b64 s[58:59], s[62:63], s[58:59]              // or to add threads
s_or_b64 s[58:59], s[64:65], s[58:59]              // or to add threads
	;; [unrolled: 1-line block ×4, first 2 shown]
s_or_saveexec_b64 s[60:61], s[58:59]               // apply combined mask
s_cbranch_execz label_0057                         // if exec is zero skip loop

/* atomic CAS loop */
label_0056:

/* apply updated masks and issue writes again */
s_mov_b64 exec, s[62:63]                           // must try again
v_mov_b32 v73, v72                                 // dataV+1 = tmp (new original C)
v_add_f32 v72, v73, v[vgprValuC+60]                // newC = rC + originalC
_buffer_atomic_cmpswap_b32 v[72:73], v70, s[sgprSrdD:sgprSrdD+3] 0 offen offset:0 glc   // attempt write
s_mov_b64 exec, s[64:65]                           // must try again
v_mov_b32 v75, v74                                 // dataV+1 = tmp (new original C)
v_add_f32 v74, v75, v[vgprValuC+61]                // newC = rC + originalC
_buffer_atomic_cmpswap_b32 v[74:75], v71, s[sgprSrdD:sgprSrdD+3] 0 offen offset:0 glc   // attempt write
	;; [unrolled: 4-line block ×4, first 2 shown]
s_waitcnt vmcnt(0)                                 // wait for atomic writes

/* apply masks and check for success */
s_mov_b64 exec, s[62:63]                           // must try again
v_cmp_ne_u32 s[58:59], v72, v73                    // c read during atomic != c read during prior load
s_and_b64 s[62:63], s[58:59], s[62:63]             // inBounds & must try again
s_mov_b64 exec, s[64:65]                           // must try again
v_cmp_ne_u32 s[58:59], v74, v75                    // c read during atomic != c read during prior load
s_and_b64 s[64:65], s[58:59], s[64:65]             // inBounds & must try again
	;; [unrolled: 3-line block ×4, first 2 shown]

/* or masks to check for exit */
s_mov_b64 s[58:59], 0x0                            // empty mask
s_or_b64 s[58:59], s[62:63], s[58:59]              // or to add threads
s_or_b64 s[58:59], s[64:65], s[58:59]              // or to add threads
	;; [unrolled: 1-line block ×4, first 2 shown]
s_or_saveexec_b64 s[60:61], s[58:59]               // apply combined mask
s_cbranch_execnz label_0056                        // try again if not complete
label_0057:
s_mov_b64 exec, -1                                 // full mask -> exec
s_branch label_GW_End_37                           // jump to end
label_GW_End_37:

label_0058:  /// KernelEnd
s_endpgm                                           // Kernel End

